;; amdgpu-corpus repo=ROCm/Tensile kind=harvested arch=n/a opt=n/a

/******************************************/
/* Function Prefix                        */
/******************************************/



/******************************************/
/* Begin Kernel                           */
/******************************************/

// Component.Signature.SignatureDefault
.amdgcn_target "amdgcn-amd-amdhsa--gfx942"
.text
.protected Cijk_Alik_Bjlk_ZB_MT96x128x16_MI16x16x4x1_SN_1LDSB1_APM1_AF0EM1_AF1EM1_AMAS0_ASGT_ASLT_ASEM1_BL1_BS1_CLR0_DTVA0_DTVB0_ETB_EPS1_ELFLR0_EMLL0_FSSC10_FL0_GLVWA1_GLVWB1_GRCGA1_GRCGB1_GRVWn1_GSU1_GSUASB_GLS0_IU1_K1_LBSPPA256_LBSPPB0_LPA2_LPB0_LRVW1_MIAV0_MKFGSU256_NTA0_NTB0_NTC4_NTD4_NEPBS2_NLCA1_NLCB1_ONLL1_PK0_PGR2_PLR1_PKA0_SIA3_SS1_SU8_SUM0_SUS256_SPO1_SRVW0_SSO4_SVW1_TSGRA0_TSGRB0_TT3_64_TLDS1_UMLDSA1_UMLDSB0_USFGROn1_VAW1_VSn1_VW1_VWB1_VFLRP0_WSGRA0_WSGRB0_WG32_8_1_WGMn36
.globl Cijk_Alik_Bjlk_ZB_MT96x128x16_MI16x16x4x1_SN_1LDSB1_APM1_AF0EM1_AF1EM1_AMAS0_ASGT_ASLT_ASEM1_BL1_BS1_CLR0_DTVA0_DTVB0_ETB_EPS1_ELFLR0_EMLL0_FSSC10_FL0_GLVWA1_GLVWB1_GRCGA1_GRCGB1_GRVWn1_GSU1_GSUASB_GLS0_IU1_K1_LBSPPA256_LBSPPB0_LPA2_LPB0_LRVW1_MIAV0_MKFGSU256_NTA0_NTB0_NTC4_NTD4_NEPBS2_NLCA1_NLCB1_ONLL1_PK0_PGR2_PLR1_PKA0_SIA3_SS1_SU8_SUM0_SUS256_SPO1_SRVW0_SSO4_SVW1_TSGRA0_TSGRB0_TT3_64_TLDS1_UMLDSA1_UMLDSB0_USFGROn1_VAW1_VSn1_VW1_VWB1_VFLRP0_WSGRA0_WSGRB0_WG32_8_1_WGMn36
.p2align 8
.type Cijk_Alik_Bjlk_ZB_MT96x128x16_MI16x16x4x1_SN_1LDSB1_APM1_AF0EM1_AF1EM1_AMAS0_ASGT_ASLT_ASEM1_BL1_BS1_CLR0_DTVA0_DTVB0_ETB_EPS1_ELFLR0_EMLL0_FSSC10_FL0_GLVWA1_GLVWB1_GRCGA1_GRCGB1_GRVWn1_GSU1_GSUASB_GLS0_IU1_K1_LBSPPA256_LBSPPB0_LPA2_LPB0_LRVW1_MIAV0_MKFGSU256_NTA0_NTB0_NTC4_NTD4_NEPBS2_NLCA1_NLCB1_ONLL1_PK0_PGR2_PLR1_PKA0_SIA3_SS1_SU8_SUM0_SUS256_SPO1_SRVW0_SSO4_SVW1_TSGRA0_TSGRB0_TT3_64_TLDS1_UMLDSA1_UMLDSB0_USFGROn1_VAW1_VSn1_VW1_VWB1_VFLRP0_WSGRA0_WSGRB0_WG32_8_1_WGMn36,@function
.section .rodata,#alloc
.p2align 6
.amdhsa_kernel Cijk_Alik_Bjlk_ZB_MT96x128x16_MI16x16x4x1_SN_1LDSB1_APM1_AF0EM1_AF1EM1_AMAS0_ASGT_ASLT_ASEM1_BL1_BS1_CLR0_DTVA0_DTVB0_ETB_EPS1_ELFLR0_EMLL0_FSSC10_FL0_GLVWA1_GLVWB1_GRCGA1_GRCGB1_GRVWn1_GSU1_GSUASB_GLS0_IU1_K1_LBSPPA256_LBSPPB0_LPA2_LPB0_LRVW1_MIAV0_MKFGSU256_NTA0_NTB0_NTC4_NTD4_NEPBS2_NLCA1_NLCB1_ONLL1_PK0_PGR2_PLR1_PKA0_SIA3_SS1_SU8_SUM0_SUS256_SPO1_SRVW0_SSO4_SVW1_TSGRA0_TSGRB0_TT3_64_TLDS1_UMLDSA1_UMLDSB0_USFGROn1_VAW1_VSn1_VW1_VWB1_VFLRP0_WSGRA0_WSGRB0_WG32_8_1_WGMn36
  .amdhsa_user_sgpr_kernarg_segment_ptr 1
  .amdhsa_user_sgpr_kernarg_preload_offset 0
  .amdhsa_user_sgpr_kernarg_preload_length 0
  .amdhsa_user_sgpr_count 2
  .amdhsa_accum_offset 256 // accvgpr offset
  .amdhsa_next_free_vgpr 448 // vgprs
  .amdhsa_next_free_sgpr 81 // sgprs
  .amdhsa_group_segment_fixed_size 60416 // lds bytes
  .amdhsa_private_segment_fixed_size 0
  .amdhsa_system_sgpr_workgroup_id_x 1
  .amdhsa_system_sgpr_workgroup_id_y 1
  .amdhsa_system_sgpr_workgroup_id_z 1
  .amdhsa_system_vgpr_workitem_id 0
  .amdhsa_float_denorm_mode_32 3
  .amdhsa_float_denorm_mode_16_64 3
.end_amdhsa_kernel
.text

/******************************************/
/* Optimizations and Config:              */
/******************************************/
/* ThreadTile= 12 x 4 */
/* SubGroup= 8 x 32 */
/* VectorWidthA=1 */
/* VectorWidthB=1 */
/* GlobalLoadVectorWidthA=1, GlobalLoadVectorWidthB=1 */
/* DirectToLdsA=False */
/* DirectToLdsB=False */
/* UseSgprForGRO=1 */
.amdgpu_metadata
---
amdhsa.version:
  - 1
  - 1
amdhsa.target: amdgcn-amd-amdhsa--gfx942
amdhsa.kernels:
  - .name: Cijk_Alik_Bjlk_ZB_MT96x128x16_MI16x16x4x1_SN_1LDSB1_APM1_AF0EM1_AF1EM1_AMAS0_ASGT_ASLT_ASEM1_BL1_BS1_CLR0_DTVA0_DTVB0_ETB_EPS1_ELFLR0_EMLL0_FSSC10_FL0_GLVWA1_GLVWB1_GRCGA1_GRCGB1_GRVWn1_GSU1_GSUASB_GLS0_IU1_K1_LBSPPA256_LBSPPB0_LPA2_LPB0_LRVW1_MIAV0_MKFGSU256_NTA0_NTB0_NTC4_NTD4_NEPBS2_NLCA1_NLCB1_ONLL1_PK0_PGR2_PLR1_PKA0_SIA3_SS1_SU8_SUM0_SUS256_SPO1_SRVW0_SSO4_SVW1_TSGRA0_TSGRB0_TT3_64_TLDS1_UMLDSA1_UMLDSB0_USFGROn1_VAW1_VSn1_VW1_VWB1_VFLRP0_WSGRA0_WSGRB0_WG32_8_1_WGMn36
    .symbol: 'Cijk_Alik_Bjlk_ZB_MT96x128x16_MI16x16x4x1_SN_1LDSB1_APM1_AF0EM1_AF1EM1_AMAS0_ASGT_ASLT_ASEM1_BL1_BS1_CLR0_DTVA0_DTVB0_ETB_EPS1_ELFLR0_EMLL0_FSSC10_FL0_GLVWA1_GLVWB1_GRCGA1_GRCGB1_GRVWn1_GSU1_GSUASB_GLS0_IU1_K1_LBSPPA256_LBSPPB0_LPA2_LPB0_LRVW1_MIAV0_MKFGSU256_NTA0_NTB0_NTC4_NTD4_NEPBS2_NLCA1_NLCB1_ONLL1_PK0_PGR2_PLR1_PKA0_SIA3_SS1_SU8_SUM0_SUS256_SPO1_SRVW0_SSO4_SVW1_TSGRA0_TSGRB0_TT3_64_TLDS1_UMLDSA1_UMLDSB0_USFGROn1_VAW1_VSn1_VW1_VWB1_VFLRP0_WSGRA0_WSGRB0_WG32_8_1_WGMn36.kd'
    .language:                   OpenCL C
    .language_version:
      - 2
      - 0
    .args:
      - .name:            Tensor2dSizeA
        .size:            8
        .offset:          0
        .value_kind:      by_value
        .value_type:      u64
      - .name:            Tensor2dSizeB
        .size:            8
        .offset:          8
        .value_kind:      by_value
        .value_type:      u64
      - .name:            AddressD
        .size:            8
        .offset:          16
        .value_kind:      by_value
        .value_type:      u64
      - .name:            AddressC
        .size:            8
        .offset:          24
        .value_kind:      by_value
        .value_type:      u64
      - .name:            AddressA
        .size:            8
        .offset:          32
        .value_kind:      by_value
        .value_type:      u64
      - .name:            AddressB
        .size:            8
        .offset:          40
        .value_kind:      by_value
        .value_type:      u64
      - .name:            Alpha
        .size:            16
        .offset:          48
        .value_kind:      by_value
        .value_type:      u128
      - .name:            Beta
        .size:            16
        .offset:          64
        .value_kind:      by_value
        .value_type:      u128
      - .name:            StridesD
        .size:            8
        .offset:          80
        .value_kind:      by_value
        .value_type:      u64
      - .name:            StridesC
        .size:            8
        .offset:          88
        .value_kind:      by_value
        .value_type:      u64
      - .name:            StridesA
        .size:            8
        .offset:          96
        .value_kind:      by_value
        .value_type:      u64
      - .name:            StridesB
        .size:            8
        .offset:          104
        .value_kind:      by_value
        .value_type:      u64
      - .name:            SizesFree
        .size:            12
        .offset:          112
        .value_kind:      by_value
        .value_type:      u96
      - .name:            SizesSum
        .size:            4
        .offset:          124
        .value_kind:      by_value
        .value_type:      u32
      - .name:            OrigStaggerUIter
        .size:            4
        .offset:          128
        .value_kind:      by_value
        .value_type:      u32
      - .name:            NumWorkGroups0
        .size:            4
        .offset:          132
        .value_kind:      by_value
        .value_type:      u32
      - .name:            NumWorkGroups1
        .size:            4
        .offset:          136
        .value_kind:      by_value
        .value_type:      u32
      - .name:            NumFullBlocks
        .size:            4
        .offset:          140
        .value_kind:      by_value
        .value_type:      u32
      - .name:            WgmRemainder1
        .size:            4
        .offset:          144
        .value_kind:      by_value
        .value_type:      u32
      - .name:            MagicNumberWgmRemainder1
        .size:            4
        .offset:          148
        .value_kind:      by_value
        .value_type:      u32
    .group_segment_fixed_size:   60416
    .kernarg_segment_align:      8
    .kernarg_segment_size:       152
    .max_flat_workgroup_size:    256
    .private_segment_fixed_size: 0
    .sgpr_count:                 81
    .sgpr_spill_count:           0
    .vgpr_count:                 256
    .vgpr_spill_count:           0
    .wavefront_size:             64
...
.end_amdgpu_metadata
Cijk_Alik_Bjlk_ZB_MT96x128x16_MI16x16x4x1_SN_1LDSB1_APM1_AF0EM1_AF1EM1_AMAS0_ASGT_ASLT_ASEM1_BL1_BS1_CLR0_DTVA0_DTVB0_ETB_EPS1_ELFLR0_EMLL0_FSSC10_FL0_GLVWA1_GLVWB1_GRCGA1_GRCGB1_GRVWn1_GSU1_GSUASB_GLS0_IU1_K1_LBSPPA256_LBSPPB0_LPA2_LPB0_LRVW1_MIAV0_MKFGSU256_NTA0_NTB0_NTC4_NTD4_NEPBS2_NLCA1_NLCB1_ONLL1_PK0_PGR2_PLR1_PKA0_SIA3_SS1_SU8_SUM0_SUS256_SPO1_SRVW0_SSO4_SVW1_TSGRA0_TSGRB0_TT3_64_TLDS1_UMLDSA1_UMLDSB0_USFGROn1_VAW1_VSn1_VW1_VWB1_VFLRP0_WSGRA0_WSGRB0_WG32_8_1_WGMn36:

/******************************************/
/* Asm syntax workarounds                 */
/******************************************/
.macro _v_add_co_u32 dst:req, cc:req, src0:req, src1:req, dpp=
   v_add_co_u32 \dst, \cc, \src0, \src1 \dpp
.endm

.macro _v_add_u32 dst:req, src0:req, src1:req, dpp=
   v_add_u32 \dst, \src0, \src1 \dpp
.endm

.macro _v_add_i32 dst:req, src0:req, src1:req, dpp=
   v_add_i32 \dst, \src0, \src1 \dpp
.endm

.macro _v_addc_co_u32 dst:req, ccOut:req, src0:req, ccIn:req, src1:req, dpp=
   v_addc_co_u32 \dst, \ccOut, \src0, \ccIn, \src1 \dpp
.endm

.macro _v_sub_co_u32 dst:req, cc:req, src0:req, src1:req, dpp=
   v_sub_co_u32 \dst, \cc, \src0, \src1 \dpp
.endm

.macro _v_sub_u32 dst:req, src0:req, src1:req, dpp=
   v_sub_u32 \dst, \src0, \src1 \dpp
.endm

.macro _v_sub_i32 dst:req, src0:req, src1:req, dpp=
   v_sub_i32 \dst, \src0, \src1 \dpp
.endm

.macro _v_add_lshl_u32 dst:req, src0:req, src1:req, shiftCnt:req
    v_add_lshl_u32 \dst, \src0, \src1, \shiftCnt
.endm

.macro _v_lshl_add_u32 dst:req, src0:req, src1:req, shiftCnt:req
    v_lshl_add_u32 \dst, \src0, \src1, \shiftCnt
.endm

.macro _v_lshl_or_b32 dst:req, src0:req, shiftCnt:req, src1:req
    v_lshl_or_b32 \dst, \src0, \shiftCnt, \src1
.endm

.macro _v_dot2acc_f32_f16 dst, src0, src1
v_dot2c_f32_f16 \dst, \src0, \src1
.endm

.macro _v_cmpx_lt_i16 dst, src0, src1=
   v_cmpx_lt_i16 \dst, \src0, \src1 
.endm

.macro _v_cmpx_lt_i32 dst, src0, src1=
   v_cmpx_lt_i32 \dst, \src0, \src1 
.endm

.macro _v_cmpx_lt_i64 dst, src0, src1=
   v_cmpx_lt_i64 \dst, \src0, \src1 
.endm

.macro _v_cmpx_lt_u16 dst, src0, src1=
   v_cmpx_lt_u16 \dst, \src0, \src1 
.endm

.macro _v_cmpx_lt_u32 dst, src0, src1=
   v_cmpx_lt_u32 \dst, \src0, \src1 
.endm

.macro _v_cmpx_lt_u64 dst, src0, src1=
   v_cmpx_lt_u64 \dst, \src0, \src1 
.endm

.macro _v_cmpx_eq_i16 dst, src0, src1=
   v_cmpx_eq_i16 \dst, \src0, \src1 
.endm

.macro _v_cmpx_eq_i32 dst, src0, src1=
   v_cmpx_eq_i32 \dst, \src0, \src1 
.endm

.macro _v_cmpx_eq_i64 dst, src0, src1=
   v_cmpx_eq_i64 \dst, \src0, \src1 
.endm

.macro _v_cmpx_eq_u16 dst, src0, src1=
   v_cmpx_eq_u16 \dst, \src0, \src1 
.endm

.macro _v_cmpx_eq_u32 dst, src0, src1=
   v_cmpx_eq_u32 \dst, \src0, \src1 
.endm

.macro _v_cmpx_eq_u64 dst, src0, src1=
   v_cmpx_eq_u64 \dst, \src0, \src1 
.endm

.macro _v_cmpx_le_i16 dst, src0, src1=
   v_cmpx_le_i16 \dst, \src0, \src1 
.endm

.macro _v_cmpx_le_i32 dst, src0, src1=
   v_cmpx_le_i32 \dst, \src0, \src1 
.endm

.macro _v_cmpx_le_i64 dst, src0, src1=
   v_cmpx_le_i64 \dst, \src0, \src1 
.endm

.macro _v_cmpx_le_u16 dst, src0, src1=
   v_cmpx_le_u16 \dst, \src0, \src1 
.endm

.macro _v_cmpx_le_u32 dst, src0, src1=
   v_cmpx_le_u32 \dst, \src0, \src1 
.endm

.macro _v_cmpx_le_u64 dst, src0, src1=
   v_cmpx_le_u64 \dst, \src0, \src1 
.endm

.macro _v_cmpx_gt_i16 dst, src0, src1=
   v_cmpx_gt_i16 \dst, \src0, \src1 
.endm

.macro _v_cmpx_gt_i32 dst, src0, src1=
   v_cmpx_gt_i32 \dst, \src0, \src1 
.endm

.macro _v_cmpx_gt_i64 dst, src0, src1=
   v_cmpx_gt_i64 \dst, \src0, \src1 
.endm

.macro _v_cmpx_gt_u16 dst, src0, src1=
   v_cmpx_gt_u16 \dst, \src0, \src1 
.endm

.macro _v_cmpx_gt_u32 dst, src0, src1=
   v_cmpx_gt_u32 \dst, \src0, \src1 
.endm

.macro _v_cmpx_gt_u64 dst, src0, src1=
   v_cmpx_gt_u64 \dst, \src0, \src1 
.endm

.macro _v_cmpx_ne_i16 dst, src0, src1=
   v_cmpx_ne_i16 \dst, \src0, \src1 
.endm

.macro _v_cmpx_ne_i32 dst, src0, src1=
   v_cmpx_ne_i32 \dst, \src0, \src1 
.endm

.macro _v_cmpx_ne_i64 dst, src0, src1=
   v_cmpx_ne_i64 \dst, \src0, \src1 
.endm

.macro _v_cmpx_ne_u16 dst, src0, src1=
   v_cmpx_ne_u16 \dst, \src0, \src1 
.endm

.macro _v_cmpx_ne_u32 dst, src0, src1=
   v_cmpx_ne_u32 \dst, \src0, \src1 
.endm

.macro _v_cmpx_ne_u64 dst, src0, src1=
   v_cmpx_ne_u64 \dst, \src0, \src1 
.endm

.macro _v_cmpx_lg_i16 dst, src0, src1=
   v_cmpx_lg_i16 \dst, \src0, \src1 
.endm

.macro _v_cmpx_lg_i32 dst, src0, src1=
   v_cmpx_lg_i32 \dst, \src0, \src1 
.endm

.macro _v_cmpx_lg_i64 dst, src0, src1=
   v_cmpx_lg_i64 \dst, \src0, \src1 
.endm

.macro _v_cmpx_lg_u16 dst, src0, src1=
   v_cmpx_lg_u16 \dst, \src0, \src1 
.endm

.macro _v_cmpx_lg_u32 dst, src0, src1=
   v_cmpx_lg_u32 \dst, \src0, \src1 
.endm

.macro _v_cmpx_lg_u64 dst, src0, src1=
   v_cmpx_lg_u64 \dst, \src0, \src1 
.endm

.macro _v_cmpx_ge_i16 dst, src0, src1=
   v_cmpx_ge_i16 \dst, \src0, \src1 
.endm

.macro _v_cmpx_ge_i32 dst, src0, src1=
   v_cmpx_ge_i32 \dst, \src0, \src1 
.endm

.macro _v_cmpx_ge_i64 dst, src0, src1=
   v_cmpx_ge_i64 \dst, \src0, \src1 
.endm

.macro _v_cmpx_ge_u16 dst, src0, src1=
   v_cmpx_ge_u16 \dst, \src0, \src1 
.endm

.macro _v_cmpx_ge_u32 dst, src0, src1=
   v_cmpx_ge_u32 \dst, \src0, \src1 
.endm

.macro _v_cmpx_ge_u64 dst, src0, src1=
   v_cmpx_ge_u64 \dst, \src0, \src1 
.endm

.macro _v_cmpx_o_i16 dst, src0, src1=
   v_cmpx_o_i16 \dst, \src0, \src1 
.endm

.macro _v_cmpx_o_i32 dst, src0, src1=
   v_cmpx_o_i32 \dst, \src0, \src1 
.endm

.macro _v_cmpx_o_i64 dst, src0, src1=
   v_cmpx_o_i64 \dst, \src0, \src1 
.endm

.macro _v_cmpx_o_u16 dst, src0, src1=
   v_cmpx_o_u16 \dst, \src0, \src1 
.endm

.macro _v_cmpx_o_u32 dst, src0, src1=
   v_cmpx_o_u32 \dst, \src0, \src1 
.endm

.macro _v_cmpx_o_u64 dst, src0, src1=
   v_cmpx_o_u64 \dst, \src0, \src1 
.endm

.macro _v_cmpx_u_i16 dst, src0, src1=
   v_cmpx_u_i16 \dst, \src0, \src1 
.endm

.macro _v_cmpx_u_i32 dst, src0, src1=
   v_cmpx_u_i32 \dst, \src0, \src1 
.endm

.macro _v_cmpx_u_i64 dst, src0, src1=
   v_cmpx_u_i64 \dst, \src0, \src1 
.endm

.macro _v_cmpx_u_u16 dst, src0, src1=
   v_cmpx_u_u16 \dst, \src0, \src1 
.endm

.macro _v_cmpx_u_u32 dst, src0, src1=
   v_cmpx_u_u32 \dst, \src0, \src1 
.endm

.macro _v_cmpx_u_u64 dst, src0, src1=
   v_cmpx_u_u64 \dst, \src0, \src1 
.endm
.macro _v_mac_f32 c:req, a:req, b:req
    v_fmac_f32 \c, \a, \b
.endmacro

/* scale global load macros */
.macro _s_load_b32 dst base offset
    s_load_dword \dst \base \offset
.endm

.macro _s_load_b64 dst base offset
    s_load_dwordx2 \dst \base \offset
.endm

.macro _s_load_b128 dst base offset
    s_load_dwordx4 \dst \base \offset
.endm

.macro _s_load_b256 dst base offset
    s_load_dwordx8 \dst \base \offset
.endm

.macro _s_load_b512 dst base offset
    s_load_dwordx16 \dst \base \offset
.endm


/* ds operation macros */
.macro _ds_load_u8 dst src offset
    ds_read_u8 \dst \src \offset
.endm

.macro _ds_load_u8_d16_hi dst src offset
    ds_read_u8_d16_hi \dst \src \offset
.endm

.macro _ds_load_u16 dst src offset
    ds_read_u16 \dst \src \offset
.endm

.macro _ds_load_u16_d16_hi dst src offset
    ds_read_u16_d16_hi \dst \src \offset
.endm

.macro _ds_load_b32 dst src offset
    ds_read_b32 \dst \src \offset
.endm

.macro _ds_load_b64 dst src offset
    ds_read_b64 \dst \src \offset
.endm

.macro _ds_load_b128 dst src offset
    ds_read_b128 \dst \src \offset
.endm

.macro _ds_store_b8 dst src offset
    ds_write_b8 \dst \src \offset
.endm

.macro _ds_store_b8_d16_hi dst src offset
    ds_write_b8_d16_hi \dst \src \offset
.endm

.macro _ds_store_b16 dst src offset
    ds_write_b16 \dst \src \offset
.endm

.macro _ds_store_b16_d16_hi dst src offset
    ds_write_b16_d16_hi \dst \src \offset
.endm

.macro _ds_store_b32 dst src offset
    ds_write_b32 \dst \src \offset
.endm

.macro _ds_store_b64 dst src offset
    ds_write_b64 \dst \src \offset
.endm

.macro _ds_store_b128 dst src offset
    ds_write_b128 \dst \src \offset
.endm

.macro _ds_load2_b32 dst src offset1 offset2
    ds_read2_b32 \dst \src \offset1 \offset2
.endm

.macro _ds_load2_b64 dst src offset1 offset2
    ds_read2_b64 \dst \src \offset1 \offset2
.endm

.macro _ds_store2_b32 dst src offset1 offset2
    ds_write2_b32 \dst \src \offset1 \offset2
.endm

.macro _ds_store2_b64 dst src offset1 offset2
    ds_write2_b64 \dst \src \offset1 \offset2
.endm


/* buffer memory operation macros */
.macro _buffer_load_b32 dst voffset base soffset offen ioffset md0 md1 md2
    buffer_load_dword \dst \voffset \base \soffset \offen \ioffset \md0 \md1 \md2
.endm

.macro _buffer_load_b64 dst voffset base soffset offen ioffset md0 md1 md2
    buffer_load_dwordx2 \dst \voffset \base \soffset \offen \ioffset \md0 \md1 \md2
.endm

.macro _buffer_load_b96 dst voffset base soffset offen ioffset md0 md1 md2
    buffer_load_dwordx3 \dst \voffset \base \soffset \offen \ioffset \md0 \md1 \md2
.endm

.macro _buffer_load_b128 dst voffset base soffset offen ioffset md0 md1 md2
    buffer_load_dwordx4 \dst \voffset \base \soffset \offen \ioffset \md0 \md1 \md2
.endm

.macro _buffer_load_d16_b16 dst voffset base soffset offen ioffset md0 md1 md2
    buffer_load_short_d16 \dst \voffset \base \soffset \offen \ioffset \md0 \md1 \md2
.endm

.macro _buffer_load_d16_hi_b16 dst voffset base soffset offen ioffset md0 md1 md2
    buffer_load_short_d16_hi \dst \voffset \base \soffset \offen \ioffset \md0 \md1 \md2
.endm

.macro _buffer_load_d16_u8 dst voffset base soffset offen ioffset md0 md1 md2
    buffer_load_ubyte_d16 \dst \voffset \base \soffset \offen \ioffset \md0 \md1 \md2
.endm

.macro _buffer_load_d16_hi_u8 dst voffset base soffset offen ioffset md0 md1 md2
    buffer_load_ubyte_d16_hi \dst \voffset \base \soffset \offen \ioffset \md0 \md1 \md2
.endm

.macro _buffer_load_u16 dst voffset base soffset offen ioffset md0 md1 md2
    buffer_load_ushort \dst \voffset \base \soffset \offen \ioffset \md0 \md1 \md2
.endm

.macro _buffer_load_b32_dtl voffset base soffset offen ioffset md0 md1 md2
    buffer_load_dword \voffset \base \soffset \offen \ioffset \md0 \md1 \md2
.endm

.macro _buffer_load_b64_dtl voffset base soffset offen ioffset md0 md1 md2
    buffer_load_dwordx2 \voffset \base \soffset \offen \ioffset \md0 \md1 \md2
.endm

.macro _buffer_load_b128_dtl voffset base soffset offen ioffset md0 md1 md2
    buffer_load_dwordx4 \voffset \base \soffset \offen \ioffset \md0 \md1 \md2
.endm

.macro _buffer_load_u16_dtl voffset base soffset offen ioffset md0 md1 md2
    buffer_load_ushort \voffset \base \soffset \offen \ioffset \md0 \md1 \md2
.endm

.macro _buffer_store_b32 src voffset base soffset offen ioffset md0 md1 md2
    buffer_store_dword \src \voffset \base \soffset \offen \ioffset \md0 \md1 \md2
.endm

.macro _buffer_store_b64 src voffset base soffset offen ioffset md0 md1 md2
    buffer_store_dwordx2 \src \voffset \base \soffset \offen \ioffset \md0 \md1 \md2
.endm

.macro _buffer_store_b96 src voffset base soffset offen ioffset md0 md1 md2
    buffer_store_dwordx3 \src \voffset \base \soffset \offen \ioffset \md0 \md1 \md2
.endm

.macro _buffer_store_b128 src voffset base soffset offen ioffset md0 md1 md2
    buffer_store_dwordx4 \src \voffset \base \soffset \offen \ioffset \md0 \md1 \md2
.endm

.macro _buffer_store_b16 src voffset base soffset offen ioffset md0 md1 md2
    buffer_store_short \src \voffset \base \soffset \offen \ioffset \md0 \md1 \md2
.endm

.macro _buffer_store_d16_hi_b16 src voffset base soffset offen ioffset md0 md1 md2
    buffer_store_short_d16_hi \src \voffset \base \soffset \offen \ioffset \md0 \md1 \md2
.endm

.macro _buffer_store_b8 src voffset base soffset offen ioffset md0 md1 md2
    buffer_store_byte \src \voffset \base \soffset \offen \ioffset \md0 \md1 \md2
.endm

.macro _buffer_store_d16_hi_b8 src voffset base soffset offen ioffset md0 md1 md2
    buffer_store_byte_d16_hi \src \voffset \base \soffset \offen \ioffset \md0 \md1 \md2
.endm

.macro _buffer_atomic_cmpswap_b32 dst voffset base soffset offen ioffset md0 md1 md2
    buffer_atomic_cmpswap \dst \voffset \base \soffset \offen \ioffset \md0 \md1 \md2
.endm

.macro _buffer_atomic_cmpswap_b64 dst voffset base soffset offen ioffset md0 md1 md2
    buffer_atomic_cmpswap_x2 \dst \voffset \base \soffset \offen \ioffset \md0 \md1 \md2
.endm


/* buffer memory operation macros */
.macro _global_load_b32 dst base src ioffset md0 md1 md2
    global_load_dword \dst \base \src \ioffset \md0 \md1 \md2
.endm

.macro _global_load_b64 dst base src ioffset md0 md1 md2
    global_load_dwordx2 \dst \base \src \ioffset \md0 \md1 \md2
.endm

.macro _global_load_b96 dst base src ioffset md0 md1 md2
    global_load_dwordx3 \dst \base \src \ioffset \md0 \md1 \md2
.endm

.macro _global_load_b128 dst base src ioffset md0 md1 md2
    global_load_dwordx4 \dst \base \src \ioffset \md0 \md1 \md2
.endm

.macro _global_load_d16_b16 dst base src ioffset md0 md1 md2
    global_load_short_d16 \dst \base \src \ioffset \md0 \md1 \md2
.endm

.macro _global_load_d16_hi_b16 dst base src ioffset md0 md1 md2
    global_load_short_d16_hi \dst \base \src \ioffset \md0 \md1 \md2
.endm

.macro _global_load_d16_u8 dst base src ioffset md0 md1 md2
    global_load_ubyte_d16 \dst \base \src \ioffset \md0 \md1 \md2
.endm

.macro _global_load_d16_hi_u8 dst base src ioffset md0 md1 md2
    global_load_ubyte_d16_hi \dst \base \src \ioffset \md0 \md1 \md2
.endm

.macro _global_load_u16 dst base src ioffset md0 md1 md2
    global_load_ushort \dst \base \src \ioffset \md0 \md1 \md2
.endm

.macro _global_store_b32 base src src2 md0 md1 md2
    global_store_dword \base \src \src2 \md0 \md1 \md2
.endm

.macro _global_store_b64 base src src2 md0 md1 md2
    global_store_dwordx2 \base \src \src2 \md0 \md1 \md2
.endm

.macro _global_store_b96 base src src2 md0 md1 md2
    global_store_dwordx3 \base \src \src2 \md0 \md1 \md2
.endm

.macro _global_store_b128 base src src2 md0 md1 md2
    global_store_dwordx4 \base \src \src2 \md0 \md1 \md2
.endm

.macro _global_store_d16_b16 base src src2 md0 md1 md2
    global_store_short \base \src \src2 \md0 \md1 \md2
.endm

.macro _global_store_d16_hi_b16 base src src2 md0 md1 md2
    global_store_short_d16_hi \base \src \src2 \md0 \md1 \md2
.endm

.macro _global_store_d16_u8 base src src2 md0 md1 md2
    global_store_ubyte_d16 \base \src \src2 \md0 \md1 \md2
.endm

.macro _global_store_d16_hi_u8 base src src2 md0 md1 md2
    global_store_ubyte_d16_hi \base \src \src2 \md0 \md1 \md2
.endm

.macro _global_store_u16 base src src2 md0 md1 md2
    global_store_ushort \base \src \src2 \md0 \md1 \md2
.endm

.macro _global_atomic_cmpswap_b32 tmp base data src ioffset md
    global_atomic_cmpswap \tmp \base \data \src \ioffset \md
.endm

.macro _global_atomic_cmpswap_b64 tmp base data src ioffset md
    global_atomic_cmpswap_x2 \tmp \base \data \src \ioffset \md
.endm


/******************************************/
/* Magic div and mod functions            */
/******************************************/
.macro V_MAGIC_DIV dstIdx:req, dividend:req, magicNumber:req, magicShift:req, magicA:req
    v_mul_hi_u32 v[\dstIdx+1], \dividend, \magicNumber
    v_mul_lo_u32 v[\dstIdx+0], \dividend, \magicA
    _v_add_u32 v[\dstIdx+0], v[\dstIdx+0], v[\dstIdx+1]
    v_lshrrev_b32 v[\dstIdx+0], \magicShift, v[\dstIdx+0]
.endm

/******************************************/
/* VGPR Assignments                       */
/******************************************/
/* ValuC range: [0-0), serializedStore enabled */
.set vgprValuC, 0
/* ValuA/B   Xn=PLR buffer idx,  In=InnerUnroll idx */
.set vgprValuA_X0_I0, 0
.set vgprValuA_X1_I0, 12
.set vgprG2LA, 60
.set vgprValuB_X0_I0, 24
.set vgprValuB_X1_I0, 40
.set vgprG2LB, 84
.set vgprLocalWriteAddrA, 56
.set vgprLocalWriteAddrB, 57
.set vgprGlobalReadOffsetA, 58
.set vgprGlobalReadOffsetB, 59
.set vgprLocalReadAddrA, 116
.set vgprLocalReadAddrB, 117
.set vgprSerial, 118
/* Num VGPR=256 */
/* Num AccVGPR=192 */

/******************************************/
/* SGPR Assignments                       */
/******************************************/
.set sgprKernArgAddress, 0 // (2)
.set sgprWorkGroup0, 2 // (1)
.set sgprWorkGroup1, 3 // (1)
.set sgprWorkGroup2, 4 // (1)
.set sgprLoopCounterL, 5 // (1)
.set sgprOrigLoopCounter, 6 // (1)
.set sgprSrdA, 8 // (4)
.set sgprSrdB, 12 // (4)
.set sgprSrdD, 16 // (4)
.set sgprSrdC, 20 // (4)
.set sgprTensor2dSizeA, 24 // (2)
.set sgprTensor2dSizeB, 26 // (2)
.set sgprAddressD, 28 // (2)
.set sgprAddressC, 30 // (2)
.set sgprAddressA, 32 // (2)
.set sgprAddressB, 34 // (2)
.set sgprAlpha, 36 // (4)
.set sgprBeta, 40 // (4)
.set sgprStridesD, 44 // (2)
.set sgprStridesC, 46 // (2)
.set sgprStridesA, 48 // (2)
.set sgprStridesB, 50 // (2)
.set sgprSizesFree, 52 // (3)
.set sgprSizesSum, 55 // (1)
.set sgprOrigStaggerUIter, 56 // (1)
.set sgprNumWorkGroups0, 57 // (1)
.set sgprNumWorkGroups1, 58 // (1)
.set sgprNumFullBlocks, 59 // (1)
.set sgprWgmRemainder1, 60 // (1)
.set sgprMagicNumberWgmRemainder1, 61 // (1)
.set sgprShadowLimitA, 0 // (2)
.set sgprShadowLimitB, 28 // (2)
.set sgprStaggerUIter, 7 // (1)
.set sgprWrapUA, 30 // (2)
.set sgprWrapUB, 32 // (2)
.set sgprGlobalReadIncsA, 34 // (1)
.set sgprGlobalReadIncsB, 35 // (1)
.set sgprScalarGlobalReadOffsetA, 64 // (5)
.set sgprScalarGlobalReadOffsetB, 69 // (7)
/* max SGPR=81 */

/* Size Assignments */
.set sgprSizeI, sgprSizesFree+0
.set sgprSizeJ, sgprSizesFree+1
.set sgprSizeK, sgprSizesFree+2
.set sgprSizeL, sgprSizesSum+0

/* Stride Assignments */
.set constStrideD0I, 1
.set sgprStrideD1J, sgprStridesD+0
.set sgprStrideDK, sgprStridesD+1
.set constStrideC0I, 1
.set sgprStrideC1J, sgprStridesC+0
.set sgprStrideCK, sgprStridesC+1
.set constStrideAL, 1
.set sgprStrideA0I, sgprStridesA+0
.set sgprStrideAK, sgprStridesA+1
.set constStrideB1J, 1
.set sgprStrideBL, sgprStridesB+0
.set sgprStrideBK, sgprStridesB+1

.set MT0, 96
.set MT1, 128
.set DepthU, 16
.set GSU, 1
.set BpeA, 16
.set BpeALog2, 4
.set BpeB, 16
.set BpeBLog2, 4
/* Number of elements to shift-left SRD */
.set SrdShiftLeftA, 1
.set SrdShiftLeftB, 1
/* 2GB limit - set offsets to -1 to exceed this and clamp */
.set BufferLimitA, 0xffffffff
.set BufferLimitB, 0xffffffff
.set BufferOOB, 0xfffff000

/******************************************/
/* Bits 127:96 of SRD.                    */
/* hex: 0x00020000                        */
/* dst_sel_x (3b): 0                      */
/* dst_sel_y (3b): 0                      */
/* dst_sel_z (3b): 0                      */
/* dst_sel_w (3b): 0                      */
/* num_format (3b): 0                     */
/* data_format (4b): 4                    */
/* user_vm_enable (1b): 0                 */
/* user_vm_mode (1b): 0                   */
/* index_stride (2b): 0                   */
/* add_tid_enable (1b): 0                 */
/* _unusedA (3b): 0                       */
/* nv (1b): 0                             */
/* _unusedB (2b): 0                       */
/* type (2b): 0                           */
/******************************************/
.set Srd127_96, 0x00020000

/* Global Offset A */
.macro GLOBAL_OFFSET_A vgprAddr:req vgprOffsetL:req vgprOffset0I:req vgprTmp:req
v_mul_lo_u32 v[\vgprTmp+0], s[sgprStrideA0I], v[\vgprOffset0I] // mul d1 lower
_v_add_co_u32 v[\vgprAddr+0], vcc, v[\vgprOffsetL], v[\vgprTmp+0] // accumulate K lower
_v_add_u32 v[\vgprAddr+0], 0x1, v[\vgprAddr+0]     // add prepad for pointer shift
v_lshlrev_b32 v[\vgprAddr+0], 0x4, v[\vgprAddr+0]  // offset *= bytes/element
.endm

/* Global Offset B */
.macro GLOBAL_OFFSET_B vgprAddr:req vgprOffset1J:req vgprOffsetL:req vgprTmp:req
v_mul_lo_u32 v[\vgprTmp+0], s[sgprStrideBL], v[\vgprOffsetL] // mul d1 lower
_v_add_co_u32 v[\vgprAddr+0], vcc, v[\vgprOffset1J], v[\vgprTmp+0] // accumulate K lower
_v_add_u32 v[\vgprAddr+0], 0x1, v[\vgprAddr+0]     // add prepad for pointer shift
v_lshlrev_b32 v[\vgprAddr+0], 0x4, v[\vgprAddr+0]  // offset *= bytes/element
.endm

/******************************************/
/* Dynamic Scalar Divide: vQuotient=vDividend/vDivisor; vRemainder=vDividend%vDivisor; */
/******************************************/
.macro DYNAMIC_VECTOR_DIVIDE vQuotient vRemainder vDividend vDivisor vTmp0 vTmp1 sTmp
v_cvt_f32_u32 v[\vQuotient], v[\vDivisor]          // 
v_rcp_f32 v[\vQuotient], v[\vQuotient]             // 
v_mul_f32 v[\vQuotient], 0x4f800000, v[\vQuotient] // 
v_cvt_u32_f32 v[\vQuotient], v[\vQuotient]         // 
v_mul_lo_u32 v[\vRemainder], v[\vDivisor], v[\vQuotient] // 
v_mul_hi_u32 v[\vTmp0], v[\vDivisor], v[\vQuotient] // 
_v_sub_co_u32 v[\vTmp1], vcc, 0x0, v[\vRemainder]  // 
v_cmp_ne_i32 s[\sTmp:\sTmp+1], 0x0, v[\vTmp0]      // 
v_cndmask_b32 v[\vRemainder], v[\vTmp1], v[\vRemainder], s[\sTmp:\sTmp+1] // 
v_mul_hi_u32 v[\vRemainder], v[\vRemainder], v[\vQuotient] // 
_v_sub_co_u32 v[\vTmp0], vcc, v[\vQuotient], v[\vRemainder] // 
_v_add_co_u32 v[\vQuotient], vcc, v[\vQuotient], v[\vRemainder] // 
v_cndmask_b32 v[\vQuotient], v[\vQuotient], v[\vTmp0], s[\sTmp:\sTmp+1] // 
v_mul_hi_u32 v[\vQuotient], v[\vQuotient], v[\vDividend] // 
v_mul_lo_u32 v[\vRemainder], v[\vQuotient], v[\vDivisor] // 
_v_sub_co_u32 v[\vTmp0], vcc, v[\vDividend], v[\vRemainder] // 
v_cmp_ge_u32 s[\sTmp:\sTmp+1], v[\vDividend], v[\vRemainder] // 
_v_add_co_u32 v[\vRemainder], vcc, 0x1, v[\vQuotient] // 
_v_add_co_u32 v[\vTmp1], vcc, -1, v[\vQuotient]    // 
v_cmp_le_u32 vcc, v[\vDivisor], v[\vTmp0]          // 
s_and_b64 vcc, s[\sTmp:\sTmp+1], vcc               // 
v_cndmask_b32 v[\vQuotient], v[\vQuotient], v[\vRemainder], vcc // 
v_cndmask_b32 v[\vQuotient], v[\vTmp1], v[\vQuotient], s[\sTmp:\sTmp+1] // 
v_cmp_ne_i32 vcc, 0x0, v[\vDivisor]                // 
v_cndmask_b32 v[\vQuotient], -1, v[\vQuotient], vcc // final result
v_mul_lo_u32 v[\vRemainder], v[\vQuotient], v[\vDivisor] // 
_v_sub_co_u32 v[\vRemainder], vcc, v[\vDividend], v[\vRemainder] // final result
.endm


	;; [unrolled: 1-line block ×3, first 2 shown]
/******************************************/
/* Allocate Resources                     */
/******************************************/

Cijk_Alik_Bjlk_ZB_MT96x128x16_MI16x16x4x1_SN_1LDSB1_APM1_AF0EM1_AF1EM1_AMAS0_ASGT_ASLT_ASEM1_BL1_BS1_CLR0_DTVA0_DTVB0_ETB_EPS1_ELFLR0_EMLL0_FSSC10_FL0_GLVWA1_GLVWB1_GRCGA1_GRCGB1_GRVWn1_GSU1_GSUASB_GLS0_IU1_K1_LBSPPA256_LBSPPB0_LPA2_LPB0_LRVW1_MIAV0_MKFGSU256_NTA0_NTB0_NTC4_NTD4_NEPBS2_NLCA1_NLCB1_ONLL1_PK0_PGR2_PLR1_PKA0_SIA3_SS1_SU8_SUM0_SUS256_SPO1_SRVW0_SSO4_SVW1_TSGRA0_TSGRB0_TT3_64_TLDS1_UMLDSA1_UMLDSB0_USFGROn1_VAW1_VSn1_VW1_VWB1_VFLRP0_WSGRA0_WSGRB0_WG32_8_1_WGMn36_preloaded: // Kernel start when preloading
s_setprio 3                                        // optimization store

/* Load Kernel Args */
_s_load_b512 s[24:39], s[sgprKernArgAddress:sgprKernArgAddress+1], 0x0 // 
_s_load_b512 s[40:55], s[sgprKernArgAddress:sgprKernArgAddress+1], 0x40 // 
_s_load_b128 s[56:59], s[sgprKernArgAddress:sgprKernArgAddress+1], 0x80 // 
_s_load_b64 s[60:61], s[sgprKernArgAddress:sgprKernArgAddress+1], 0x90 // 
s_mov_b32 m0, 0xec00                               // LDS clamp at 60416 bytes
v_mov_b32 v[vgprSerial], v0                        // thread serial id

/******************************************/
/* Local Read Addresses                   */
/******************************************/


/* local read addresses: tile assignments a/b */

/*lr0I*/
v_and_b32 v1, 63, v[vgprSerial]                    // 0. thread id in wave: wtid = tid % wavelength(64)
v_and_b32 v0, 15, v1                               // 1. N offset: nIdx = wtid % MI_N(16)
v_lshlrev_b32 v0, 0x4, v0                          // 1. N offset: nOffset = nIdx * nStride(16)
                                                   // 2. block offset: bnIdx = bnIdx % num1DBlocks(1) is 0. do nothing
                                                   // 4. apply VectorWidth: bnOffset = bnOffset * vw(1) (multiplier is 1, do nothing)
v_lshrrev_b32 v1, 4, v1                            // 5. K offset: kIdx = wtid / (MIN(16) * MIBB(1))
                                                   // 5. K offset: lrKOffset = kIdx * mStride(1) (multiplier is 1, do nothing)
_v_add_u32 v0, v1, v0                              // 6. offset in wave: lrOffset = bnOffset + lrKOffset
v_lshrrev_b32 v2, 6, v[vgprSerial]                 // 7. wave offset in N dimen: wtid = tid / dividedForWaveId(64)
v_and_b32 v1, 1, v2                                // 7. wave offset in M dimen: wtid0 = wtid / num1DWaves(2)
v_lshlrev_b32 v1, 0x8, v1                          // 7. wave offset in M dimen: wOffset = wtid0 * W0Stride(256)
_v_add_u32 v0, v1, v0                              // 8. final local read offset: flrOffset = lrOffset + WOffset
/*lr1J*/
v_and_b32 v2, 63, v[vgprSerial]                    // 0. thread id in wave: wtid = tid % wavelength(64)
v_and_b32 v1, 15, v2                               // 1. N offset: nIdx = wtid % MI_N(16)
                                                   // 1. N offset: nOffset = nIdx * nStride(1) (multiplier is 1, do nothing)
                                                   // 2. block offset: bnIdx = bnIdx % num1DBlocks(1) is 0. do nothing
                                                   // 4. apply VectorWidth: bnOffset = bnOffset * vw(1) (multiplier is 1, do nothing)
v_lshrrev_b32 v2, 4, v2                            // 5. K offset: kIdx = wtid / (MIN(16) * MIBB(1))
v_lshlrev_b32 v2, 0x7, v2                          // 5. K offset: lrKOffset = kIdx * mStride(128)
_v_add_u32 v1, v2, v1                              // 6. offset in wave: lrOffset = bnOffset + lrKOffset
v_lshrrev_b32 v3, 7, v[vgprSerial]                 // 7. wave offset in N dimen: wtid = tid / dividedForWaveId(128)
v_and_b32 v2, 1, v3                                // 7. wave offset in M dimen: wtid0 = wtid / num1DWaves(2)
v_lshlrev_b32 v2, 0x4, v2                          // 7. wave offset in M dimen: wOffset = wtid0 * W0Stride(16)
_v_add_u32 v1, v2, v1                              // 8. final local read offset: flrOffset = lrOffset + WOffset


/* local read addresses: final offsets a */

v_lshlrev_b32 v[vgprLocalReadAddrA], 0x4, v0       // Final Offset: offset = (lro0)*bpe
v_lshrrev_b32 v0, 8, v[vgprLocalReadAddrA]         // Final Offset: padding 2 per block 256
v_lshlrev_b32 v0, 0x5, v0                          // Final Offset: padding 2 per block 256
_v_add_u32 v[vgprLocalReadAddrA], v0, v[vgprLocalReadAddrA] // Final Offset: add padding 2 per block 256


/* local read addresses: final offsets b */

v_lshlrev_b32 v[vgprLocalReadAddrB], 0x4, v1       // Final Offset: offset = (lro1)*bpe


/* local read addresses: declare addresses a */

/* N/A */


/* local read addresses: declare addresses b */

_v_add_co_u32 v[vgprLocalReadAddrB+0], vcc, 0x6c00, v[vgprLocalReadAddrB+0] //  += LdsOffsetB (lower)


/* global read addresses: tile offset assignment a */

/* LVCA = 16 */
/* v0 = (local)groA-tile = serial/LVCA (note (wgA*MTA) will be added to SRD) */
/* v1 = groA-unroll = serial%LVCA */
v_lshrrev_b32 v0, 4, v[vgprSerial]                 // v0 = v[vgprSerial] / 16
v_and_b32 v1, 15, v[vgprSerial]                    // v1 = v[vgprSerial] % 16
/* gro-unroll *= glvw */
                                                   // v1 = v1 * 1 (multiplier is 1, do nothing)


/* global read addresses: tile offset assignment b */

/* LVCB = 128 */
/* v2 = (local)groB-tile = serial%LVCB (note (wgB*MTB) will be added to SRD) */
/* v3 = groB-unroll = serial/LVCB */
v_lshrrev_b32 v3, 7, v[vgprSerial]                 // v3 = v[vgprSerial] / 128
v_and_b32 v2, 127, v[vgprSerial]                   // v2 = v[vgprSerial] % 128
/* gro-tile *= glvw */
                                                   // v2 = v2 * 1 (multiplier is 1, do nothing)


/******************************************/
/* Local Write Addresses                  */
/******************************************/

/* lwaTileAssignmentA = v0 */

/* lwaTileAssignmentB = v2 */

/* lwaUnrollAssignmentA = v1 */

/* lwaUnrollAssignmentB = v3 */


/* local write addresses: first offset a */

v_mul_u32_u24 v[vgprLocalWriteAddrA], 0x10, v0     // lwAL**(DepthU_Compute + PAD)
_v_add_lshl_u32 v[vgprLocalWriteAddrA], v1, v[vgprLocalWriteAddrA], 0x4 // lwFOA = (lwAA + lwAL*(DepthU+PAD))*bpe
v_lshrrev_b32 v4, 8, v[vgprLocalWriteAddrA]        // padding 2 per block 256
v_lshlrev_b32 v4, 0x5, v4                          // padding 2 per block 256
_v_add_u32 v[vgprLocalWriteAddrA], v4, v[vgprLocalWriteAddrA] // add padding 2 per block 256


/* local write addresses: first offset b */

v_mul_u32_u24 v[vgprLocalWriteAddrB], 0x80, v3     // lwBL**(MTB + PAD)
_v_add_lshl_u32 v[vgprLocalWriteAddrB], v2, v[vgprLocalWriteAddrB], 0x4 // lwFOB = (lwBB + lwBL*(MT1J+PAD))*bpe
_v_add_co_u32 v[vgprLocalWriteAddrB], vcc, 0x6c00, v[vgprLocalWriteAddrB] // lwFOB = lwB1J + lwBL*MT1J + LDS_OFFSET_B=1728*16


	;; [unrolled: 1-line block ×7, first 2 shown]
s_waitcnt lgkmcnt(0)                               // wait for 152 bytes of kern args
s_mov_b64 s[sgprSrdC+0:sgprSrdC+0+1], s[sgprAddressC+0:sgprAddressC+0+1] // copy addressC
s_mov_b64 s[sgprSrdD+0:sgprSrdD+0+1], s[sgprAddressD+0:sgprAddressD+0+1] // copy addressD
s_sub_u32 s[sgprSrdA+0], s[sgprAddressA+0], 16     // pre-pad to make room for possible pointer shift
s_subb_u32 s[sgprSrdA+1], s[sgprAddressA+1], 0     // pre-pad to make room for possible pointer shift
s_sub_u32 s[sgprSrdB+0], s[sgprAddressB+0], 16     // pre-pad to make room for possible pointer shift
s_subb_u32 s[sgprSrdB+1], s[sgprAddressB+1], 0     // pre-pad to make room for possible pointer shift

.set AddressD, UNDEF
.set AddressC, UNDEF
.set AddressA, UNDEF
.set AddressB, UNDEF

/* Short circuit condition if Alpha == 0, then sumDims=0 */
v_cmp_eq_f64 vcc, s[sgprAlpha:sgprAlpha+1], 0.0    // Alpha.real == 0.0 ?
s_cbranch_vccz label_AlphaNonZero                  // branch if Alpha.real != 0
v_cmp_eq_f64 vcc, s[sgprAlpha+2:sgprAlpha+2+1], 0.0 // Alpha.imag == 0.0 ?
s_cbranch_vccz label_AlphaNonZero                  // branch if Alpha.imag != 0
s_mov_b32 s[sgprSizesSum+0], 0x0                   // Set summation dim=0 if Alpha == 0
label_AlphaNonZero:


	;; [unrolled: 1-line block ×3, first 2 shown]
/******************************************/
/* Begin setupNewTile, isPap=False           */
/******************************************/


/* global read addresses: work-group */

/* graWorkGroup mapping */


/* global read addresses: unroll assignment a */

/* v1 */


/* global read addresses: unroll assignment b */

/* v3 */


/* global read addresses: other free assignments */

/* s[sgprWorkGroup2] */


/* global read addresses: tile offsets a */


	;; [unrolled: 1-line block ×3, first 2 shown]
/* global read addresses: tile offsets b */


	;; [unrolled: 1-line block ×3, first 2 shown]
/* global read addresses: unroll offsets a */



/* global read addresses: unroll offsets b */


	;; [unrolled: 1-line block ×3, first 2 shown]
/* global read addresses: branch a */


	;; [unrolled: 1-line block ×3, first 2 shown]
/* global read addresses: branch b */


	;; [unrolled: 1-line block ×3, first 2 shown]
/* global read addresses: final offsets a */

GLOBAL_OFFSET_A vgprGlobalReadOffsetA+0,  1,  0, 4 // gROA_0_0_0_0
s_mul_i32 s[sgprScalarGlobalReadOffsetA+0], s[sgprStrideA0I], 16 // compute offset diff (scaled tileDim)
s_lshl_b32 s[sgprScalarGlobalReadOffsetA+0], s[sgprScalarGlobalReadOffsetA+0], 0x4 // scalar offset *= bytes/element
s_mul_i32 s[sgprScalarGlobalReadOffsetA+1], s[sgprStrideA0I], 32 // compute offset diff (scaled tileDim)
s_lshl_b32 s[sgprScalarGlobalReadOffsetA+1], s[sgprScalarGlobalReadOffsetA+1], 0x4 // scalar offset *= bytes/element
	;; [unrolled: 2-line block ×5, first 2 shown]


/* global read addresses: final offsets b */

GLOBAL_OFFSET_B vgprGlobalReadOffsetB+0,  2,  3, 4 // gROB_0_0_0_0
s_mul_i32 s[sgprScalarGlobalReadOffsetB+0], s[sgprStrideBL], 2 // compute offset diff (scaled unrollDim)
s_lshl_b32 s[sgprScalarGlobalReadOffsetB+0], s[sgprScalarGlobalReadOffsetB+0], 0x4 // scalar offset *= bytes/element
s_mul_i32 s[sgprScalarGlobalReadOffsetB+1], s[sgprStrideBL], 4 // compute offset diff (scaled unrollDim)
s_lshl_b32 s[sgprScalarGlobalReadOffsetB+1], s[sgprScalarGlobalReadOffsetB+1], 0x4 // scalar offset *= bytes/element
	;; [unrolled: 2-line block ×7, first 2 shown]


/* global read addresses: addresses a */

/* max read offset = size[n] * stride[n-1] */
s_mul_hi_u32 s79, s[sgprWorkGroup0], 96            // WorkGroup[01] * MT
s_mul_i32 s78, s[sgprWorkGroup0], 96               // WorkGroup[01] * MT
s_mul_hi_u32 s79, s78, s[sgprStrideA0I]            // tlu=0, scaled tile-offset by stride
s_mul_i32 s78, s78, s[sgprStrideA0I]               // tlu=0, scaled tile-offset by stride
s_sub_u32 s[sgprShadowLimitA+0], s[sgprTensor2dSizeA], s78 // sub tileStart
s_subb_u32 s[sgprShadowLimitA+1], s[sgprTensor2dSizeA+1], s79 // sub tileStart
s_lshl_b64 s[sgprShadowLimitA:sgprShadowLimitA+1], s[sgprShadowLimitA:sgprShadowLimitA+1], 0x4 // Set limit to use bytes
s_add_u32 s[sgprShadowLimitA+0], s[sgprShadowLimitA+0], 16 // extend limit for pre-pad
s_addc_u32 s[sgprShadowLimitA+1], s[sgprShadowLimitA+1], 0 // extend limit for pre-pad
s_cmp_eq_u32 s[sgprShadowLimitA+1], 0              // are we within 2^32?
s_cselect_b32 s[sgprSrdA+2], s[sgprShadowLimitA+0], BufferLimitA // Move shadow to real if we are within 2^32
s_mul_hi_u32 s77, s[sgprStrideAK], s[sgprWorkGroup2] // Stride*WG
s_mul_i32 s76, s[sgprStrideAK], s[sgprWorkGroup2]  // Stride*WG
s_add_u32 s78, s78, s76                            // accum wg term to tilestart
s_addc_u32 s79, s79, s77                           // accum wg term to tilestart
s_lshl_b64 s[78:79], s[78:79], 0x4                 // tileStart *= BPE
s_add_u32 s[sgprSrdA+0], s[sgprSrdA+0], s78        // SRD base = Address+ tileStart0
s_addc_u32 s[sgprSrdA+1], s[sgprSrdA+1], s79       // SRD base = Address+ tileStart1
s_mov_b32 s[sgprSrdA+3], Srd127_96                 // Set bits 127_96 in SRD


/* global read addresses: addresses b */

/* max read offset = size[n] * stride[n-1] */
s_mul_hi_u32 s79, s[sgprWorkGroup1], 128           // WorkGroup[01] * MT
s_mul_i32 s78, s[sgprWorkGroup1], 128              // WorkGroup[01] * MT
s_sub_u32 s[sgprShadowLimitB+0], s[sgprTensor2dSizeB], s78 // sub tileStart
s_subb_u32 s[sgprShadowLimitB+1], s[sgprTensor2dSizeB+1], s79 // sub tileStart
s_lshl_b64 s[sgprShadowLimitB:sgprShadowLimitB+1], s[sgprShadowLimitB:sgprShadowLimitB+1], 0x4 // Set limit to use bytes
s_add_u32 s[sgprShadowLimitB+0], s[sgprShadowLimitB+0], 16 // extend limit for pre-pad
s_addc_u32 s[sgprShadowLimitB+1], s[sgprShadowLimitB+1], 0 // extend limit for pre-pad
s_cmp_eq_u32 s[sgprShadowLimitB+1], 0              // are we within 2^32?
s_cselect_b32 s[sgprSrdB+2], s[sgprShadowLimitB+0], BufferLimitB // Move shadow to real if we are within 2^32
s_mul_hi_u32 s77, s[sgprStrideBK], s[sgprWorkGroup2] // Stride*WG
s_mul_i32 s76, s[sgprStrideBK], s[sgprWorkGroup2]  // Stride*WG
s_add_u32 s78, s78, s76                            // accum wg term to tilestart
s_addc_u32 s79, s79, s77                           // accum wg term to tilestart
s_lshl_b64 s[78:79], s[78:79], 0x4                 // tileStart *= BPE
s_add_u32 s[sgprSrdB+0], s[sgprSrdB+0], s78        // SRD base = Address+ tileStart0
s_addc_u32 s[sgprSrdB+1], s[sgprSrdB+1], s79       // SRD base = Address+ tileStart1
s_mov_b32 s[sgprSrdB+3], Srd127_96                 // Set bits 127_96 in SRD


/* global read addresses: increments a */

s_mov_b32 s[sgprGlobalReadIncsA+0], DepthU*BpeA    // incrA (unrollIdx)


/* global read addresses: increments b */

s_mul_i32 s[sgprGlobalReadIncsB+0], DepthU*BpeB, s[sgprStrideBL] // incrB unrollIdx)

/* declare loop num iterations */


s_lshr_b32 s[sgprLoopCounterL], s[sgprSizesSum+0], 4 // s[sgprLoopCounterL] = s[sgprSizesSum+0] / 16
s_mov_b32 s[sgprOrigLoopCounter], s[sgprLoopCounterL] // copy loop counter

s_and_b32 s[sgprStaggerUIter], s[sgprOrigStaggerUIter], s[sgprWorkGroup0] // Compute actual stagger start for this tile


/* SRDs += (StaggerUIter) * GlobalReadIncsA+0 */
s_mul_hi_u32 s77, s[sgprStaggerUIter], s[sgprGlobalReadIncsA+0] //  stagger byte offset
s_mul_i32 s76, s[sgprStaggerUIter], s[sgprGlobalReadIncsA+0] //  stagger byte offset
s_mul_hi_u32 s[sgprWrapUA+1], s[sgprLoopCounterL], s[sgprGlobalReadIncsA+0] // Number of bytes accessed by the unroll loop
s_mul_i32 s[sgprWrapUA+0], s[sgprLoopCounterL], s[sgprGlobalReadIncsA+0] // Number of bytes accessed by the unroll loop
s_sub_u32 s[sgprWrapUA+0], s[sgprGlobalReadIncsA+0], s[sgprWrapUA+0] // remove one iteration
s_subb_u32 s[sgprWrapUA+1], 0, s[sgprWrapUA+1]     // remove one iteration
s_add_u32 s[sgprSrdA+0], s[sgprSrdA+0], s76        // gra SRD += inc(lower)
s_addc_u32  s[sgprSrdA+1], s[sgprSrdA+1], s77      // gra SRD += inc(upper)
s_sub_u32 s[sgprShadowLimitA+0], s[sgprShadowLimitA+0], s76 // limit -= inc)
s_subb_u32 s[sgprShadowLimitA+1], s[sgprShadowLimitA+1], s77 // limit -= inc)
s_cmp_eq_u32 s[sgprShadowLimitA+1], 0              // are we within 2^32?
s_cselect_b32 s[sgprSrdA+2], s[sgprShadowLimitA+0], BufferLimitA // Move shadow to real if we are within 2^32


/* SRDs += (StaggerUIter) * GlobalReadIncsB+0 */
s_mul_hi_u32 s77, s[sgprStaggerUIter], s[sgprGlobalReadIncsB+0] //  stagger byte offset
s_mul_i32 s76, s[sgprStaggerUIter], s[sgprGlobalReadIncsB+0] //  stagger byte offset
s_mul_hi_u32 s[sgprWrapUB+1], s[sgprLoopCounterL], s[sgprGlobalReadIncsB+0] // Number of bytes accessed by the unroll loop
s_mul_i32 s[sgprWrapUB+0], s[sgprLoopCounterL], s[sgprGlobalReadIncsB+0] // Number of bytes accessed by the unroll loop
s_sub_u32 s[sgprWrapUB+0], s[sgprGlobalReadIncsB+0], s[sgprWrapUB+0] // remove one iteration
s_subb_u32 s[sgprWrapUB+1], 0, s[sgprWrapUB+1]     // remove one iteration
s_add_u32 s[sgprSrdB+0], s[sgprSrdB+0], s76        // gra SRD += inc(lower)
s_addc_u32  s[sgprSrdB+1], s[sgprSrdB+1], s77      // gra SRD += inc(upper)
s_sub_u32 s[sgprShadowLimitB+0], s[sgprShadowLimitB+0], s76 // limit -= inc)
s_subb_u32 s[sgprShadowLimitB+1], s[sgprShadowLimitB+1], s77 // limit -= inc)
s_cmp_eq_u32 s[sgprShadowLimitB+1], 0              // are we within 2^32?
s_cselect_b32 s[sgprSrdB+2], s[sgprShadowLimitB+0], BufferLimitB // Move shadow to real if we are within 2^32
s_add_u32 s[sgprStaggerUIter], s[sgprStaggerUIter], 2 // Subtract (PGR-1); StaggerUIter now contains target iteration to wrap

/* local read addresses: init pointers a */


/* localReadInitPointers */

/* local read addresses: init pointers b */


/* localReadInitPointers */


/* prefetch: global -> local */

s_cmp_eq_u32 s[sgprLoopCounterL], 0                // at last iteration?
s_setprio 0                                        // optimization store
s_cbranch_scc1 ShadowInitStart_10                  // skip to ShadowInitStart iter b/c numIter==0


_buffer_load_b128 v[vgprG2LA+0:vgprG2LA+0+3], v[vgprGlobalReadOffsetA+0], s[sgprSrdA:sgprSrdA+3], 0, offen offset:0 // G -> Reg 0_0_0_0
_buffer_load_b128 v[vgprG2LA+4:vgprG2LA+4+3], v[vgprGlobalReadOffsetA+0], s[sgprSrdA:sgprSrdA+3], s[sgprScalarGlobalReadOffsetA+0], offen offset:0 // G -> Reg 0_0_1_0
_buffer_load_b128 v[vgprG2LA+8:vgprG2LA+8+3], v[vgprGlobalReadOffsetA+0], s[sgprSrdA:sgprSrdA+3], s[sgprScalarGlobalReadOffsetA+1], offen offset:0 // G -> Reg 0_0_2_0
_buffer_load_b128 v[vgprG2LA+12:vgprG2LA+12+3], v[vgprGlobalReadOffsetA+0], s[sgprSrdA:sgprSrdA+3], s[sgprScalarGlobalReadOffsetA+2], offen offset:0 // G -> Reg 0_0_3_0
_buffer_load_b128 v[vgprG2LA+16:vgprG2LA+16+3], v[vgprGlobalReadOffsetA+0], s[sgprSrdA:sgprSrdA+3], s[sgprScalarGlobalReadOffsetA+3], offen offset:0 // G -> Reg 0_0_4_0
_buffer_load_b128 v[vgprG2LA+20:vgprG2LA+20+3], v[vgprGlobalReadOffsetA+0], s[sgprSrdA:sgprSrdA+3], s[sgprScalarGlobalReadOffsetA+4], offen offset:0 // G -> Reg 0_0_5_0


_buffer_load_b128 v[vgprG2LB+0:vgprG2LB+0+3], v[vgprGlobalReadOffsetB+0], s[sgprSrdB:sgprSrdB+3], 0, offen offset:0 // G -> Reg 0_0_0_0
_buffer_load_b128 v[vgprG2LB+4:vgprG2LB+4+3], v[vgprGlobalReadOffsetB+0], s[sgprSrdB:sgprSrdB+3], s[sgprScalarGlobalReadOffsetB+0], offen offset:0 // G -> Reg 0_0_1_0
_buffer_load_b128 v[vgprG2LB+8:vgprG2LB+8+3], v[vgprGlobalReadOffsetB+0], s[sgprSrdB:sgprSrdB+3], s[sgprScalarGlobalReadOffsetB+1], offen offset:0 // G -> Reg 0_0_2_0
_buffer_load_b128 v[vgprG2LB+12:vgprG2LB+12+3], v[vgprGlobalReadOffsetB+0], s[sgprSrdB:sgprSrdB+3], s[sgprScalarGlobalReadOffsetB+2], offen offset:0 // G -> Reg 0_0_3_0
_buffer_load_b128 v[vgprG2LB+16:vgprG2LB+16+3], v[vgprGlobalReadOffsetB+0], s[sgprSrdB:sgprSrdB+3], s[sgprScalarGlobalReadOffsetB+3], offen offset:0 // G -> Reg 0_0_4_0
_buffer_load_b128 v[vgprG2LB+20:vgprG2LB+20+3], v[vgprGlobalReadOffsetB+0], s[sgprSrdB:sgprSrdB+3], s[sgprScalarGlobalReadOffsetB+4], offen offset:0 // G -> Reg 0_0_5_0
_buffer_load_b128 v[vgprG2LB+24:vgprG2LB+24+3], v[vgprGlobalReadOffsetB+0], s[sgprSrdB:sgprSrdB+3], s[sgprScalarGlobalReadOffsetB+5], offen offset:0 // G -> Reg 0_0_6_0
_buffer_load_b128 v[vgprG2LB+28:vgprG2LB+28+3], v[vgprGlobalReadOffsetB+0], s[sgprSrdB:sgprSrdB+3], s[sgprScalarGlobalReadOffsetB+6], offen offset:0 // G -> Reg 0_0_7_0


/* global read inc A loopL */
s_add_u32 s78, s[sgprLoopCounterL], 1              // remove pf(1)
s_cmp_eq_u32 s[sgprStaggerUIter], s78              // Is this wrapIter? (pf)
s_cselect_b32 s76, s[sgprWrapUA+0], s[sgprGlobalReadIncsA+0] // incLower <- ?
s_cselect_b32 s77, s[sgprWrapUA+1], 0              // incUpper <- ?
s_add_u32 s[sgprSrdA+0], s[sgprSrdA+0], s76        // gra SRD += inc(lower)
s_addc_u32  s[sgprSrdA+1], s[sgprSrdA+1], s77      // gra SRD += inc(upper)
s_sub_u32 s[sgprShadowLimitA+0], s[sgprShadowLimitA+0], s76 // limit -= inc)
s_subb_u32 s[sgprShadowLimitA+1], s[sgprShadowLimitA+1], s77 // limit -= inc)
s_cmp_eq_u32 s[sgprShadowLimitA+1], 0              // are we within 2^32?
s_cselect_b32 s[sgprSrdA+2], s[sgprShadowLimitA+0], BufferLimitA // Move shadow to real if we are within 2^32

/* global read inc B loopL */
s_add_u32 s78, s[sgprLoopCounterL], 1              // remove pf(1)
s_cmp_eq_u32 s[sgprStaggerUIter], s78              // Is this wrapIter? (pf)
s_cselect_b32 s76, s[sgprWrapUB+0], s[sgprGlobalReadIncsB+0] // incLower <- ?
s_cselect_b32 s77, s[sgprWrapUB+1], 0              // incUpper <- ?
s_add_u32 s[sgprSrdB+0], s[sgprSrdB+0], s76        // gra SRD += inc(lower)
s_addc_u32  s[sgprSrdB+1], s[sgprSrdB+1], s77      // gra SRD += inc(upper)
s_sub_u32 s[sgprShadowLimitB+0], s[sgprShadowLimitB+0], s76 // limit -= inc)
s_subb_u32 s[sgprShadowLimitB+1], s[sgprShadowLimitB+1], s77 // limit -= inc)
s_cmp_eq_u32 s[sgprShadowLimitB+1], 0              // are we within 2^32?
s_cselect_b32 s[sgprSrdB+2], s[sgprShadowLimitB+0], BufferLimitB // Move shadow to real if we are within 2^32


/******************************************/
/* End setupNewTile, isPap=False             */
/******************************************/

ShadowInitStart_10: // 

s_mov_b32 s[sgprSrdD+2], BufferOOB                 // 
s_mov_b32 s[sgprSrdD+3], Srd127_96                 // Set bits 127_96 in post-loop SRD

s_mov_b32 s[sgprSrdC+2], BufferOOB                 // 
s_mov_b32 s[sgprSrdC+3], Srd127_96                 // Set bits 127_96 in post-loop SRD


s_mul_i32 s78, MT1, s[sgprWorkGroup1]              // <- wg1*MT1
s_mul_hi_u32 s77, s78, s[sgprStrideC1J]            // CScale s78 by Stride
s_mul_i32 s76, s78, s[sgprStrideC1J]               // CScale s78 by Stride
s_lshl_b64 s[76:77], s[76:77], 4                   // scale by bpe
s_add_u32 s[sgprSrdC+0], s[sgprSrdC+0], s76        // add lo to SRD
s_addc_u32 s[sgprSrdC+1], s[sgprSrdC+1], s77       // add hi to SRD
s_mul_hi_u32 s77, s78, s[sgprStrideD1J]            // Scale s78 by Stride
s_mul_i32 s76, s78, s[sgprStrideD1J]               // Scale s78 by Stride
s_lshl_b64 s[76:77], s[76:77], 4                   // scale by bpe
s_add_u32 s[sgprSrdD+0], s[sgprSrdD+0], s76        // add lo to SRD
s_addc_u32 s[sgprSrdD+1], s[sgprSrdD+1], s77       // add hi to SRD

s_mul_hi_u32 s77, s[sgprWorkGroup2], s[sgprStrideCK] // CScale s[sgprWorkGroup2] by Stride
s_mul_i32 s76, s[sgprWorkGroup2], s[sgprStrideCK]  // CScale s[sgprWorkGroup2] by Stride
s_lshl_b64 s[76:77], s[76:77], 4                   // scale by bpe
s_add_u32 s[sgprSrdC+0], s[sgprSrdC+0], s76        // add lo to SRD
s_addc_u32 s[sgprSrdC+1], s[sgprSrdC+1], s77       // add hi to SRD
s_mul_hi_u32 s77, s[sgprWorkGroup2], s[sgprStrideDK] // Scale s[sgprWorkGroup2] by Stride
s_mul_i32 s76, s[sgprWorkGroup2], s[sgprStrideDK]  // Scale s[sgprWorkGroup2] by Stride
s_lshl_b64 s[76:77], s[76:77], 4                   // scale by bpe
s_add_u32 s[sgprSrdD+0], s[sgprSrdD+0], s76        // add lo to SRD
s_addc_u32 s[sgprSrdD+1], s[sgprSrdD+1], s77       // add hi to SRD


	;; [unrolled: 1-line block ×3, first 2 shown]
/* initC: remove C-tile 0-0 from pool */

/* initC: remove AB-tile 0-56 from pool */
v_accvgpr_write acc0, 0x0                          // initC
v_accvgpr_write acc1, 0x0                          // initC
v_accvgpr_write acc2, 0x0                          // initC
v_accvgpr_write acc3, 0x0                          // initC
v_accvgpr_write acc4, 0x0                          // initC
v_accvgpr_write acc5, 0x0                          // initC
v_accvgpr_write acc6, 0x0                          // initC
v_accvgpr_write acc7, 0x0                          // initC
v_accvgpr_write acc8, 0x0                          // initC
v_accvgpr_write acc9, 0x0                          // initC
v_accvgpr_write acc10, 0x0                         // initC
v_accvgpr_write acc11, 0x0                         // initC
v_accvgpr_write acc12, 0x0                         // initC
v_accvgpr_write acc13, 0x0                         // initC
v_accvgpr_write acc14, 0x0                         // initC
v_accvgpr_write acc15, 0x0                         // initC
v_accvgpr_write acc16, 0x0                         // initC
v_accvgpr_write acc17, 0x0                         // initC
v_accvgpr_write acc18, 0x0                         // initC
v_accvgpr_write acc19, 0x0                         // initC
v_accvgpr_write acc20, 0x0                         // initC
v_accvgpr_write acc21, 0x0                         // initC
v_accvgpr_write acc22, 0x0                         // initC
v_accvgpr_write acc23, 0x0                         // initC
v_accvgpr_write acc24, 0x0                         // initC
v_accvgpr_write acc25, 0x0                         // initC
v_accvgpr_write acc26, 0x0                         // initC
v_accvgpr_write acc27, 0x0                         // initC
v_accvgpr_write acc28, 0x0                         // initC
v_accvgpr_write acc29, 0x0                         // initC
v_accvgpr_write acc30, 0x0                         // initC
v_accvgpr_write acc31, 0x0                         // initC
v_accvgpr_write acc32, 0x0                         // initC
v_accvgpr_write acc33, 0x0                         // initC
v_accvgpr_write acc34, 0x0                         // initC
v_accvgpr_write acc35, 0x0                         // initC
v_accvgpr_write acc36, 0x0                         // initC
v_accvgpr_write acc37, 0x0                         // initC
v_accvgpr_write acc38, 0x0                         // initC
v_accvgpr_write acc39, 0x0                         // initC
v_accvgpr_write acc40, 0x0                         // initC
v_accvgpr_write acc41, 0x0                         // initC
v_accvgpr_write acc42, 0x0                         // initC
v_accvgpr_write acc43, 0x0                         // initC
v_accvgpr_write acc44, 0x0                         // initC
v_accvgpr_write acc45, 0x0                         // initC
v_accvgpr_write acc46, 0x0                         // initC
v_accvgpr_write acc47, 0x0                         // initC
v_accvgpr_write acc48, 0x0                         // initC
v_accvgpr_write acc49, 0x0                         // initC
v_accvgpr_write acc50, 0x0                         // initC
v_accvgpr_write acc51, 0x0                         // initC
v_accvgpr_write acc52, 0x0                         // initC
v_accvgpr_write acc53, 0x0                         // initC
v_accvgpr_write acc54, 0x0                         // initC
v_accvgpr_write acc55, 0x0                         // initC
v_accvgpr_write acc56, 0x0                         // initC
v_accvgpr_write acc57, 0x0                         // initC
v_accvgpr_write acc58, 0x0                         // initC
v_accvgpr_write acc59, 0x0                         // initC
v_accvgpr_write acc60, 0x0                         // initC
v_accvgpr_write acc61, 0x0                         // initC
v_accvgpr_write acc62, 0x0                         // initC
v_accvgpr_write acc63, 0x0                         // initC
v_accvgpr_write acc64, 0x0                         // initC
v_accvgpr_write acc65, 0x0                         // initC
v_accvgpr_write acc66, 0x0                         // initC
v_accvgpr_write acc67, 0x0                         // initC
v_accvgpr_write acc68, 0x0                         // initC
v_accvgpr_write acc69, 0x0                         // initC
v_accvgpr_write acc70, 0x0                         // initC
v_accvgpr_write acc71, 0x0                         // initC
v_accvgpr_write acc72, 0x0                         // initC
v_accvgpr_write acc73, 0x0                         // initC
v_accvgpr_write acc74, 0x0                         // initC
v_accvgpr_write acc75, 0x0                         // initC
v_accvgpr_write acc76, 0x0                         // initC
v_accvgpr_write acc77, 0x0                         // initC
v_accvgpr_write acc78, 0x0                         // initC
v_accvgpr_write acc79, 0x0                         // initC
v_accvgpr_write acc80, 0x0                         // initC
v_accvgpr_write acc81, 0x0                         // initC
v_accvgpr_write acc82, 0x0                         // initC
v_accvgpr_write acc83, 0x0                         // initC
v_accvgpr_write acc84, 0x0                         // initC
v_accvgpr_write acc85, 0x0                         // initC
v_accvgpr_write acc86, 0x0                         // initC
v_accvgpr_write acc87, 0x0                         // initC
v_accvgpr_write acc88, 0x0                         // initC
v_accvgpr_write acc89, 0x0                         // initC
v_accvgpr_write acc90, 0x0                         // initC
v_accvgpr_write acc91, 0x0                         // initC
v_accvgpr_write acc92, 0x0                         // initC
v_accvgpr_write acc93, 0x0                         // initC
v_accvgpr_write acc94, 0x0                         // initC
v_accvgpr_write acc95, 0x0                         // initC
v_accvgpr_write acc96, 0x0                         // initC
v_accvgpr_write acc97, 0x0                         // initC
v_accvgpr_write acc98, 0x0                         // initC
v_accvgpr_write acc99, 0x0                         // initC
v_accvgpr_write acc100, 0x0                        // initC
v_accvgpr_write acc101, 0x0                        // initC
v_accvgpr_write acc102, 0x0                        // initC
v_accvgpr_write acc103, 0x0                        // initC
v_accvgpr_write acc104, 0x0                        // initC
v_accvgpr_write acc105, 0x0                        // initC
v_accvgpr_write acc106, 0x0                        // initC
v_accvgpr_write acc107, 0x0                        // initC
v_accvgpr_write acc108, 0x0                        // initC
v_accvgpr_write acc109, 0x0                        // initC
v_accvgpr_write acc110, 0x0                        // initC
v_accvgpr_write acc111, 0x0                        // initC
v_accvgpr_write acc112, 0x0                        // initC
v_accvgpr_write acc113, 0x0                        // initC
v_accvgpr_write acc114, 0x0                        // initC
v_accvgpr_write acc115, 0x0                        // initC
v_accvgpr_write acc116, 0x0                        // initC
v_accvgpr_write acc117, 0x0                        // initC
v_accvgpr_write acc118, 0x0                        // initC
v_accvgpr_write acc119, 0x0                        // initC
v_accvgpr_write acc120, 0x0                        // initC
v_accvgpr_write acc121, 0x0                        // initC
v_accvgpr_write acc122, 0x0                        // initC
v_accvgpr_write acc123, 0x0                        // initC
v_accvgpr_write acc124, 0x0                        // initC
v_accvgpr_write acc125, 0x0                        // initC
v_accvgpr_write acc126, 0x0                        // initC
v_accvgpr_write acc127, 0x0                        // initC
v_accvgpr_write acc128, 0x0                        // initC
v_accvgpr_write acc129, 0x0                        // initC
v_accvgpr_write acc130, 0x0                        // initC
v_accvgpr_write acc131, 0x0                        // initC
v_accvgpr_write acc132, 0x0                        // initC
v_accvgpr_write acc133, 0x0                        // initC
v_accvgpr_write acc134, 0x0                        // initC
v_accvgpr_write acc135, 0x0                        // initC
v_accvgpr_write acc136, 0x0                        // initC
v_accvgpr_write acc137, 0x0                        // initC
v_accvgpr_write acc138, 0x0                        // initC
v_accvgpr_write acc139, 0x0                        // initC
v_accvgpr_write acc140, 0x0                        // initC
v_accvgpr_write acc141, 0x0                        // initC
v_accvgpr_write acc142, 0x0                        // initC
v_accvgpr_write acc143, 0x0                        // initC
v_accvgpr_write acc144, 0x0                        // initC
v_accvgpr_write acc145, 0x0                        // initC
v_accvgpr_write acc146, 0x0                        // initC
v_accvgpr_write acc147, 0x0                        // initC
v_accvgpr_write acc148, 0x0                        // initC
v_accvgpr_write acc149, 0x0                        // initC
v_accvgpr_write acc150, 0x0                        // initC
v_accvgpr_write acc151, 0x0                        // initC
v_accvgpr_write acc152, 0x0                        // initC
v_accvgpr_write acc153, 0x0                        // initC
v_accvgpr_write acc154, 0x0                        // initC
v_accvgpr_write acc155, 0x0                        // initC
v_accvgpr_write acc156, 0x0                        // initC
v_accvgpr_write acc157, 0x0                        // initC
v_accvgpr_write acc158, 0x0                        // initC
v_accvgpr_write acc159, 0x0                        // initC
v_accvgpr_write acc160, 0x0                        // initC
v_accvgpr_write acc161, 0x0                        // initC
v_accvgpr_write acc162, 0x0                        // initC
v_accvgpr_write acc163, 0x0                        // initC
v_accvgpr_write acc164, 0x0                        // initC
v_accvgpr_write acc165, 0x0                        // initC
v_accvgpr_write acc166, 0x0                        // initC
v_accvgpr_write acc167, 0x0                        // initC
v_accvgpr_write acc168, 0x0                        // initC
v_accvgpr_write acc169, 0x0                        // initC
v_accvgpr_write acc170, 0x0                        // initC
v_accvgpr_write acc171, 0x0                        // initC
v_accvgpr_write acc172, 0x0                        // initC
v_accvgpr_write acc173, 0x0                        // initC
v_accvgpr_write acc174, 0x0                        // initC
v_accvgpr_write acc175, 0x0                        // initC
v_accvgpr_write acc176, 0x0                        // initC
v_accvgpr_write acc177, 0x0                        // initC
v_accvgpr_write acc178, 0x0                        // initC
v_accvgpr_write acc179, 0x0                        // initC
v_accvgpr_write acc180, 0x0                        // initC
v_accvgpr_write acc181, 0x0                        // initC
v_accvgpr_write acc182, 0x0                        // initC
v_accvgpr_write acc183, 0x0                        // initC
v_accvgpr_write acc184, 0x0                        // initC
v_accvgpr_write acc185, 0x0                        // initC
v_accvgpr_write acc186, 0x0                        // initC
v_accvgpr_write acc187, 0x0                        // initC
v_accvgpr_write acc188, 0x0                        // initC
v_accvgpr_write acc189, 0x0                        // initC
v_accvgpr_write acc190, 0x0                        // initC
v_accvgpr_write acc191, 0x0                        // initC

s_cmp_eq_u32 s[sgprLoopCounterL], 0                // at last iteration?

/* after InitC, skip to end of prefetch last iter if numIter==0 */
s_cbranch_scc0 label_NoBranch_11                   // Only branch on scc1
s_getpc_B64 s[76:77]                               // addr of next instr
s_add_i32 s78, PrefetchGlobalLastIterEnd_5, 0x4    // target branch offset
s_add_u32 s76, s76, s78                            // add target branch offset
s_addc_u32 s77, s77, 0                             // add high and carry
s_setpc_b64 s[76:77]                               // branch to PrefetchGlobalLastIterEnd_5
label_NoBranch_11:

s_waitcnt vmcnt(0)                                 // lgkmcnt=-1 vmcnt=0 8wait for global read


/* local write a */
_ds_store_b128 v[vgprLocalWriteAddrA], v[vgprG2LA+0:vgprG2LA+0+3] offset:0 // lwoA_0_0_0_0 = (0*LSCA)*(MT0I+PAD) + (0*LSPA) = 0
_ds_store_b128 v[vgprLocalWriteAddrA], v[vgprG2LA+4:vgprG2LA+4+3] offset:4608 // lwoA_0_0_1_0 = (0*LSCA)*(MT0I+PAD) + (1*LSPA) = 4608
_ds_store_b128 v[vgprLocalWriteAddrA], v[vgprG2LA+8:vgprG2LA+8+3] offset:9216 // lwoA_0_0_2_0 = (0*LSCA)*(MT0I+PAD) + (2*LSPA) = 9216
_ds_store_b128 v[vgprLocalWriteAddrA], v[vgprG2LA+12:vgprG2LA+12+3] offset:13824 // lwoA_0_0_3_0 = (0*LSCA)*(MT0I+PAD) + (3*LSPA) = 13824
_ds_store_b128 v[vgprLocalWriteAddrA], v[vgprG2LA+16:vgprG2LA+16+3] offset:18432 // lwoA_0_0_4_0 = (0*LSCA)*(MT0I+PAD) + (4*LSPA) = 18432
_ds_store_b128 v[vgprLocalWriteAddrA], v[vgprG2LA+20:vgprG2LA+20+3] offset:23040 // lwoA_0_0_5_0 = (0*LSCA)*(MT0I+PAD) + (5*LSPA) = 23040

/* local write b */
_ds_store_b128 v[vgprLocalWriteAddrB], v[vgprG2LB+0:vgprG2LB+0+3] offset:0 // lwoB_0_0_0_0 = (0*LSCB) + (0*LSPB)(*MT1J+PAD) = 0
_ds_store_b128 v[vgprLocalWriteAddrB], v[vgprG2LB+4:vgprG2LB+4+3] offset:4096 // lwoB_0_0_1_0 = (0*LSCB) + (1*LSPB)(*MT1J+PAD) = 4096
_ds_store_b128 v[vgprLocalWriteAddrB], v[vgprG2LB+8:vgprG2LB+8+3] offset:8192 // lwoB_0_0_2_0 = (0*LSCB) + (2*LSPB)(*MT1J+PAD) = 8192
_ds_store_b128 v[vgprLocalWriteAddrB], v[vgprG2LB+12:vgprG2LB+12+3] offset:12288 // lwoB_0_0_3_0 = (0*LSCB) + (3*LSPB)(*MT1J+PAD) = 12288
_ds_store_b128 v[vgprLocalWriteAddrB], v[vgprG2LB+16:vgprG2LB+16+3] offset:16384 // lwoB_0_0_4_0 = (0*LSCB) + (4*LSPB)(*MT1J+PAD) = 16384
_ds_store_b128 v[vgprLocalWriteAddrB], v[vgprG2LB+20:vgprG2LB+20+3] offset:20480 // lwoB_0_0_5_0 = (0*LSCB) + (5*LSPB)(*MT1J+PAD) = 20480
_ds_store_b128 v[vgprLocalWriteAddrB], v[vgprG2LB+24:vgprG2LB+24+3] offset:24576 // lwoB_0_0_6_0 = (0*LSCB) + (6*LSPB)(*MT1J+PAD) = 24576
_ds_store_b128 v[vgprLocalWriteAddrB], v[vgprG2LB+28:vgprG2LB+28+3] offset:28672 // lwoB_0_0_7_0 = (0*LSCB) + (7*LSPB)(*MT1J+PAD) = 28672


/* local write swap a */


	;; [unrolled: 1-line block ×3, first 2 shown]
/* local write swap b */




s_cmp_eq_u32 s[sgprLoopCounterL] 0x1               // PGR=2 but only 1 loop
s_cbranch_scc1 label_0012                          // PGR=2 but only 1 loop


_buffer_load_b128 v[vgprG2LA+0:vgprG2LA+0+3], v[vgprGlobalReadOffsetA+0], s[sgprSrdA:sgprSrdA+3], 0, offen offset:0 // G -> Reg 0_0_0_0
_buffer_load_b128 v[vgprG2LA+4:vgprG2LA+4+3], v[vgprGlobalReadOffsetA+0], s[sgprSrdA:sgprSrdA+3], s[sgprScalarGlobalReadOffsetA+0], offen offset:0 // G -> Reg 0_0_1_0
_buffer_load_b128 v[vgprG2LA+8:vgprG2LA+8+3], v[vgprGlobalReadOffsetA+0], s[sgprSrdA:sgprSrdA+3], s[sgprScalarGlobalReadOffsetA+1], offen offset:0 // G -> Reg 0_0_2_0
_buffer_load_b128 v[vgprG2LA+12:vgprG2LA+12+3], v[vgprGlobalReadOffsetA+0], s[sgprSrdA:sgprSrdA+3], s[sgprScalarGlobalReadOffsetA+2], offen offset:0 // G -> Reg 0_0_3_0
_buffer_load_b128 v[vgprG2LA+16:vgprG2LA+16+3], v[vgprGlobalReadOffsetA+0], s[sgprSrdA:sgprSrdA+3], s[sgprScalarGlobalReadOffsetA+3], offen offset:0 // G -> Reg 0_0_4_0
_buffer_load_b128 v[vgprG2LA+20:vgprG2LA+20+3], v[vgprGlobalReadOffsetA+0], s[sgprSrdA:sgprSrdA+3], s[sgprScalarGlobalReadOffsetA+4], offen offset:0 // G -> Reg 0_0_5_0


_buffer_load_b128 v[vgprG2LB+0:vgprG2LB+0+3], v[vgprGlobalReadOffsetB+0], s[sgprSrdB:sgprSrdB+3], 0, offen offset:0 // G -> Reg 0_0_0_0
_buffer_load_b128 v[vgprG2LB+4:vgprG2LB+4+3], v[vgprGlobalReadOffsetB+0], s[sgprSrdB:sgprSrdB+3], s[sgprScalarGlobalReadOffsetB+0], offen offset:0 // G -> Reg 0_0_1_0
_buffer_load_b128 v[vgprG2LB+8:vgprG2LB+8+3], v[vgprGlobalReadOffsetB+0], s[sgprSrdB:sgprSrdB+3], s[sgprScalarGlobalReadOffsetB+1], offen offset:0 // G -> Reg 0_0_2_0
_buffer_load_b128 v[vgprG2LB+12:vgprG2LB+12+3], v[vgprGlobalReadOffsetB+0], s[sgprSrdB:sgprSrdB+3], s[sgprScalarGlobalReadOffsetB+2], offen offset:0 // G -> Reg 0_0_3_0
_buffer_load_b128 v[vgprG2LB+16:vgprG2LB+16+3], v[vgprGlobalReadOffsetB+0], s[sgprSrdB:sgprSrdB+3], s[sgprScalarGlobalReadOffsetB+3], offen offset:0 // G -> Reg 0_0_4_0
_buffer_load_b128 v[vgprG2LB+20:vgprG2LB+20+3], v[vgprGlobalReadOffsetB+0], s[sgprSrdB:sgprSrdB+3], s[sgprScalarGlobalReadOffsetB+4], offen offset:0 // G -> Reg 0_0_5_0
_buffer_load_b128 v[vgprG2LB+24:vgprG2LB+24+3], v[vgprGlobalReadOffsetB+0], s[sgprSrdB:sgprSrdB+3], s[sgprScalarGlobalReadOffsetB+5], offen offset:0 // G -> Reg 0_0_6_0
_buffer_load_b128 v[vgprG2LB+28:vgprG2LB+28+3], v[vgprGlobalReadOffsetB+0], s[sgprSrdB:sgprSrdB+3], s[sgprScalarGlobalReadOffsetB+6], offen offset:0 // G -> Reg 0_0_7_0

label_0012:                                        // 

s_waitcnt lgkmcnt(0)                               // lgkmcnt=0 vmcnt=-10prefetch wait for local write

// Skip force waitcnt0
s_barrier //


/* local read prefetch a */

_ds_load_b128 v[vgprValuA_X0_I0+0:vgprValuA_X0_I0+0+3], v[vgprLocalReadAddrA] offset:0 // L -> Reg lro=0 swapByteOffset=0 ti=32 vIdx=0 rIdx=0 oIdx=0 buffer=0 iui=0
_ds_load_b128 v[vgprValuA_X0_I0+4:vgprValuA_X0_I0+4+3], v[vgprLocalReadAddrA] offset:9216 // L -> Reg lro=0 swapByteOffset=0 ti=32 vIdx=1 rIdx=0 oIdx=0 buffer=0 iui=0
	;; [unrolled: 1-line block ×3, first 2 shown]


/* local read prefetch b */

_ds_load_b128 v[vgprValuB_X0_I0+0:vgprValuB_X0_I0+0+3], v[vgprLocalReadAddrB] offset:0 // L -> Reg lro=0 swapByteOffset=0 ti=32 vIdx=0 rIdx=0 oIdx=0 buffer=0 iui=0
_ds_load_b128 v[vgprValuB_X0_I0+4:vgprValuB_X0_I0+4+3], v[vgprLocalReadAddrB] offset:512 // L -> Reg lro=0 swapByteOffset=0 ti=32 vIdx=1 rIdx=0 oIdx=0 buffer=0 iui=0
	;; [unrolled: 1-line block ×4, first 2 shown]


/* local read inc a */

/* N/A, lro->4 */
/* self.localReadDoCntA 1 self.localReadDoCntB 1 */


/* local read inc b */

/* N/A, lro->512 */
/* self.localReadDoCntA 1 self.localReadDoCntB 1 */


	;; [unrolled: 1-line block ×3, first 2 shown]
/******************************************/
/* Unrolled Loop(s) - Begin               */
/******************************************/

openLoopL_13:
s_cmp_eq_u32 s[sgprLoopCounterL], 0x1              // LoopCounterL < EndCounter
s_cbranch_scc1 label_0014                          // PGR=2 but only 1 loop, toPGR1
s_cmp_le_u32 s[sgprLoopCounterL], 0x2              // LoopCounterL < EndCounter
s_cbranch_scc1 LoopEndL_evenexit_4                 // do not enter LoopL
LoopBeginL_1:


/******************************************/
/* Unrolled Loop 1/2 - Begin              */
/******************************************/

label_0015: // LoopCopy1 


/* Begin Each Unroll: Check VGPR.checkin for INT8 LW */


	;; [unrolled: 1-line block ×3, first 2 shown]
/* iter 0 */

/*  grEndMfmaIndex:6, lwStartMfmaIndex:109, lwEndMfmaIndex:178  */
/*  numMfmaForLR:11, barrierMfmaIndex:180, LocalWritePerMfma:0.190 */
/*  mfmaIndex:0  */
s_waitcnt lgkmcnt(0)                               // lgkmcnt=0 vmcnt=-1wait for prior local read local write old=0, new=0 newLW=0 newLR=0
v_add_f64 v[120:121], -v[vgprValuA_X0_I0+0+0+0+2:vgprValuA_X0_I0+0+0+0+2+1], 0 // Ai=-Ai
v_mfma_f64_16x16x4_f64 a[0+0:7+0], v[vgprValuB_X0_I0+0+0+0:vgprValuB_X0_I0+0+0+0+1], v[vgprValuA_X0_I0+0+0+0:vgprValuA_X0_I0+0+0+0+1], a[0:7]
 // Cr += Ar*Br
/*  mfmaIndex:1  */
_ds_load_b128 v[vgprValuA_X1_I0+0:vgprValuA_X1_I0+0+3], v[vgprLocalReadAddrA] offset:64 // L -> Reg lro=4 swapByteOffset=0 ti=32 vIdx=0 rIdx=0 oIdx=0 buffer=1 iui=0

/* global read inc A loopL */
s_cmp_eq_u32 s[sgprLoopCounterL], s[sgprStaggerUIter] // Is this the wrapIter?
s_cselect_b32 s76, s[sgprWrapUA+0], s[sgprGlobalReadIncsA+0] // incLower <- ?
s_cselect_b32 s77, s[sgprWrapUA+1], 0              // incUpper <- ?
v_mfma_f64_16x16x4_f64 a[96+0:103+0], v[vgprValuB_X0_I0+0+0+0:vgprValuB_X0_I0+0+0+0+1], v[vgprValuA_X0_I0+0+0+0+2:vgprValuA_X0_I0+0+0+0+2+1], a[96:103]
 // Ci += Ai*Br
/*  mfmaIndex:2  */
_ds_load_b128 v[vgprValuB_X1_I0+0:vgprValuB_X1_I0+0+3], v[vgprLocalReadAddrB] offset:8192 // L -> Reg lro=512 swapByteOffset=0 ti=32 vIdx=0 rIdx=0 oIdx=0 buffer=1 iui=0
s_add_u32 s[sgprSrdA+0], s[sgprSrdA+0], s76        // gra SRD += inc(lower)
s_addc_u32  s[sgprSrdA+1], s[sgprSrdA+1], s77      // gra SRD += inc(upper)
s_sub_u32 s[sgprShadowLimitA+0], s[sgprShadowLimitA+0], s76 // limit -= inc)
v_mfma_f64_16x16x4_f64 a[0+0:7+0], v[vgprValuB_X0_I0+0+0+0+2:vgprValuB_X0_I0+0+0+0+2+1], v[120:121], a[0:7]
 // Cr += -Ai*Bi
/*  mfmaIndex:3  */
_ds_load_b128 v[vgprValuA_X1_I0+4:vgprValuA_X1_I0+4+3], v[vgprLocalReadAddrA] offset:9280 // L -> Reg lro=4 swapByteOffset=0 ti=32 vIdx=1 rIdx=0 oIdx=0 buffer=1 iui=0
s_subb_u32 s[sgprShadowLimitA+1], s[sgprShadowLimitA+1], s77 // limit -= inc)
s_cmp_eq_u32 s[sgprShadowLimitA+1], 0              // are we within 2^32?
s_cselect_b32 s[sgprSrdA+2], s[sgprShadowLimitA+0], BufferLimitA // Move shadow to real if we are within 2^32
v_mfma_f64_16x16x4_f64 a[96+0:103+0], v[vgprValuB_X0_I0+0+0+0+2:vgprValuB_X0_I0+0+0+0+2+1], v[vgprValuA_X0_I0+0+0+0:vgprValuA_X0_I0+0+0+0+1], a[96:103]
 // Ci += Ar*Bi
/*  mfmaIndex:4  */
_ds_load_b128 v[vgprValuA_X1_I0+8:vgprValuA_X1_I0+8+3], v[vgprLocalReadAddrA] offset:18496 // L -> Reg lro=4 swapByteOffset=0 ti=32 vIdx=2 rIdx=0 oIdx=0 buffer=1 iui=0

/* global read inc B loopL */
s_cmp_eq_u32 s[sgprLoopCounterL], s[sgprStaggerUIter] // Is this the wrapIter?
s_cselect_b32 s76, s[sgprWrapUB+0], s[sgprGlobalReadIncsB+0] // incLower <- ?
s_cselect_b32 s77, s[sgprWrapUB+1], 0              // incUpper <- ?
v_mfma_f64_16x16x4_f64 a[24+0:31+0], v[vgprValuB_X0_I0+4+0+0:vgprValuB_X0_I0+4+0+0+1], v[vgprValuA_X0_I0+0+0+0:vgprValuA_X0_I0+0+0+0+1], a[24:31]
 // Cr += Ar*Br
/*  mfmaIndex:5  */
_ds_load_b128 v[vgprValuB_X1_I0+4:vgprValuB_X1_I0+4+3], v[vgprLocalReadAddrB] offset:8704 // L -> Reg lro=512 swapByteOffset=0 ti=32 vIdx=1 rIdx=0 oIdx=0 buffer=1 iui=0
s_add_u32 s[sgprSrdB+0], s[sgprSrdB+0], s76        // gra SRD += inc(lower)
s_addc_u32  s[sgprSrdB+1], s[sgprSrdB+1], s77      // gra SRD += inc(upper)
s_sub_u32 s[sgprShadowLimitB+0], s[sgprShadowLimitB+0], s76 // limit -= inc)
v_mfma_f64_16x16x4_f64 a[120+0:127+0], v[vgprValuB_X0_I0+4+0+0:vgprValuB_X0_I0+4+0+0+1], v[vgprValuA_X0_I0+0+0+0+2:vgprValuA_X0_I0+0+0+0+2+1], a[120:127]
 // Ci += Ai*Br
/*  mfmaIndex:6  */
_ds_load_b128 v[vgprValuB_X1_I0+8:vgprValuB_X1_I0+8+3], v[vgprLocalReadAddrB] offset:9216 // L -> Reg lro=512 swapByteOffset=0 ti=32 vIdx=2 rIdx=0 oIdx=0 buffer=1 iui=0
s_subb_u32 s[sgprShadowLimitB+1], s[sgprShadowLimitB+1], s77 // limit -= inc)
s_cmp_eq_u32 s[sgprShadowLimitB+1], 0              // are we within 2^32?
s_cselect_b32 s[sgprSrdB+2], s[sgprShadowLimitB+0], BufferLimitB // Move shadow to real if we are within 2^32
v_mfma_f64_16x16x4_f64 a[24+0:31+0], v[vgprValuB_X0_I0+4+0+0+2:vgprValuB_X0_I0+4+0+0+2+1], v[120:121], a[24:31]
 // Cr += -Ai*Bi
/*  mfmaIndex:7  */
_ds_load_b128 v[vgprValuB_X1_I0+12:vgprValuB_X1_I0+12+3], v[vgprLocalReadAddrB] offset:9728 // L -> Reg lro=512 swapByteOffset=0 ti=32 vIdx=3 rIdx=0 oIdx=0 buffer=1 iui=0
/* localReadsVacancy: latencyLeft 1 */
v_mfma_f64_16x16x4_f64 a[120+0:127+0], v[vgprValuB_X0_I0+4+0+0+2:vgprValuB_X0_I0+4+0+0+2+1], v[vgprValuA_X0_I0+0+0+0:vgprValuA_X0_I0+0+0+0+1], a[120:127]
 // Ci += Ar*Bi
/*  mfmaIndex:8  */
/* localReadsVacancy: latencyLeft 5 */
v_mfma_f64_16x16x4_f64 a[48+0:55+0], v[vgprValuB_X0_I0+8+0+0:vgprValuB_X0_I0+8+0+0+1], v[vgprValuA_X0_I0+0+0+0:vgprValuA_X0_I0+0+0+0+1], a[48:55]
 // Cr += Ar*Br
/*  mfmaIndex:9  */
/* localReadsVacancy: latencyLeft 5 */
v_mfma_f64_16x16x4_f64 a[144+0:151+0], v[vgprValuB_X0_I0+8+0+0:vgprValuB_X0_I0+8+0+0+1], v[vgprValuA_X0_I0+0+0+0+2:vgprValuA_X0_I0+0+0+0+2+1], a[144:151]
 // Ci += Ai*Br
/*  mfmaIndex:10  */
/* localReadsVacancy: latencyLeft 5 */
v_mfma_f64_16x16x4_f64 a[48+0:55+0], v[vgprValuB_X0_I0+8+0+0+2:vgprValuB_X0_I0+8+0+0+2+1], v[120:121], a[48:55]
 // Cr += -Ai*Bi
/*  mfmaIndex:11  */
/* localReadsVacancy: latencyLeft 5 */
v_mfma_f64_16x16x4_f64 a[144+0:151+0], v[vgprValuB_X0_I0+8+0+0+2:vgprValuB_X0_I0+8+0+0+2+1], v[vgprValuA_X0_I0+0+0+0:vgprValuA_X0_I0+0+0+0+1], a[144:151]
 // Ci += Ar*Bi
/*  mfmaIndex:12  */
/* localReadsVacancy: latencyLeft 5 */
v_mfma_f64_16x16x4_f64 a[72+0:79+0], v[vgprValuB_X0_I0+12+0+0:vgprValuB_X0_I0+12+0+0+1], v[vgprValuA_X0_I0+0+0+0:vgprValuA_X0_I0+0+0+0+1], a[72:79]
 // Cr += Ar*Br
/*  mfmaIndex:13  */
/* localReadsVacancy: latencyLeft 5 */
v_mfma_f64_16x16x4_f64 a[168+0:175+0], v[vgprValuB_X0_I0+12+0+0:vgprValuB_X0_I0+12+0+0+1], v[vgprValuA_X0_I0+0+0+0+2:vgprValuA_X0_I0+0+0+0+2+1], a[168:175]
 // Ci += Ai*Br
/*  mfmaIndex:14  */
/* localReadsVacancy: latencyLeft 5 */
v_mfma_f64_16x16x4_f64 a[72+0:79+0], v[vgprValuB_X0_I0+12+0+0+2:vgprValuB_X0_I0+12+0+0+2+1], v[120:121], a[72:79]
 // Cr += -Ai*Bi
/*  mfmaIndex:15  */
/* localReadsVacancy: latencyLeft 5 */
v_mfma_f64_16x16x4_f64 a[168+0:175+0], v[vgprValuB_X0_I0+12+0+0+2:vgprValuB_X0_I0+12+0+0+2+1], v[vgprValuA_X0_I0+0+0+0:vgprValuA_X0_I0+0+0+0+1], a[168:175]
 // Ci += Ar*Bi
/*  mfmaIndex:16  */
/* localReadsVacancy: latencyLeft 5 */
v_add_f64 v[120:121], -v[vgprValuA_X0_I0+4+0+0+2:vgprValuA_X0_I0+4+0+0+2+1], 0 // Ai=-Ai
v_mfma_f64_16x16x4_f64 a[8+0:15+0], v[vgprValuB_X0_I0+0+0+0:vgprValuB_X0_I0+0+0+0+1], v[vgprValuA_X0_I0+4+0+0:vgprValuA_X0_I0+4+0+0+1], a[8:15]
 // Cr += Ar*Br
/*  mfmaIndex:17  */
/* localReadsVacancy: latencyLeft 5 */
v_mfma_f64_16x16x4_f64 a[104+0:111+0], v[vgprValuB_X0_I0+0+0+0:vgprValuB_X0_I0+0+0+0+1], v[vgprValuA_X0_I0+4+0+0+2:vgprValuA_X0_I0+4+0+0+2+1], a[104:111]
 // Ci += Ai*Br
/*  mfmaIndex:18  */
/* localReadsVacancy: latencyLeft 5 */
v_mfma_f64_16x16x4_f64 a[8+0:15+0], v[vgprValuB_X0_I0+0+0+0+2:vgprValuB_X0_I0+0+0+0+2+1], v[120:121], a[8:15]
 // Cr += -Ai*Bi
/*  mfmaIndex:19  */
/* localReadsVacancy: latencyLeft 5 */
v_mfma_f64_16x16x4_f64 a[104+0:111+0], v[vgprValuB_X0_I0+0+0+0+2:vgprValuB_X0_I0+0+0+0+2+1], v[vgprValuA_X0_I0+4+0+0:vgprValuA_X0_I0+4+0+0+1], a[104:111]
 // Ci += Ar*Bi
/*  mfmaIndex:20  */
/* localReadsVacancy: latencyLeft 5 */
v_mfma_f64_16x16x4_f64 a[32+0:39+0], v[vgprValuB_X0_I0+4+0+0:vgprValuB_X0_I0+4+0+0+1], v[vgprValuA_X0_I0+4+0+0:vgprValuA_X0_I0+4+0+0+1], a[32:39]
 // Cr += Ar*Br
/*  mfmaIndex:21  */
/* localReadsVacancy: latencyLeft 5 */
v_mfma_f64_16x16x4_f64 a[128+0:135+0], v[vgprValuB_X0_I0+4+0+0:vgprValuB_X0_I0+4+0+0+1], v[vgprValuA_X0_I0+4+0+0+2:vgprValuA_X0_I0+4+0+0+2+1], a[128:135]
 // Ci += Ai*Br
/*  mfmaIndex:22  */
/* localReadsVacancy: latencyLeft 5 */
v_mfma_f64_16x16x4_f64 a[32+0:39+0], v[vgprValuB_X0_I0+4+0+0+2:vgprValuB_X0_I0+4+0+0+2+1], v[120:121], a[32:39]
 // Cr += -Ai*Bi
/*  mfmaIndex:23  */
/* localReadsVacancy: latencyLeft 5 */
v_mfma_f64_16x16x4_f64 a[128+0:135+0], v[vgprValuB_X0_I0+4+0+0+2:vgprValuB_X0_I0+4+0+0+2+1], v[vgprValuA_X0_I0+4+0+0:vgprValuA_X0_I0+4+0+0+1], a[128:135]
 // Ci += Ar*Bi
/*  mfmaIndex:24  */
/* localReadsVacancy: latencyLeft 5 */
	;; [unrolled: 16-line block ×4, first 2 shown]
v_add_f64 v[120:121], -v[vgprValuA_X0_I0+8+0+0+2:vgprValuA_X0_I0+8+0+0+2+1], 0 // Ai=-Ai
v_mfma_f64_16x16x4_f64 a[16+0:23+0], v[vgprValuB_X0_I0+0+0+0:vgprValuB_X0_I0+0+0+0+1], v[vgprValuA_X0_I0+8+0+0:vgprValuA_X0_I0+8+0+0+1], a[16:23]
 // Cr += Ar*Br
/*  mfmaIndex:33  */
/* localReadsVacancy: latencyLeft 5 */
v_mfma_f64_16x16x4_f64 a[112+0:119+0], v[vgprValuB_X0_I0+0+0+0:vgprValuB_X0_I0+0+0+0+1], v[vgprValuA_X0_I0+8+0+0+2:vgprValuA_X0_I0+8+0+0+2+1], a[112:119]
 // Ci += Ai*Br
/*  mfmaIndex:34  */
/* localReadsVacancy: latencyLeft 5 */
v_mfma_f64_16x16x4_f64 a[16+0:23+0], v[vgprValuB_X0_I0+0+0+0+2:vgprValuB_X0_I0+0+0+0+2+1], v[120:121], a[16:23]
 // Cr += -Ai*Bi
/*  mfmaIndex:35  */
/* localReadsVacancy: latencyLeft 5 */
v_mfma_f64_16x16x4_f64 a[112+0:119+0], v[vgprValuB_X0_I0+0+0+0+2:vgprValuB_X0_I0+0+0+0+2+1], v[vgprValuA_X0_I0+8+0+0:vgprValuA_X0_I0+8+0+0+1], a[112:119]
 // Ci += Ar*Bi
/*  mfmaIndex:36  */
/* localReadsVacancy: latencyLeft 5 */
v_mfma_f64_16x16x4_f64 a[40+0:47+0], v[vgprValuB_X0_I0+4+0+0:vgprValuB_X0_I0+4+0+0+1], v[vgprValuA_X0_I0+8+0+0:vgprValuA_X0_I0+8+0+0+1], a[40:47]
 // Cr += Ar*Br
/*  mfmaIndex:37  */
/* localReadsVacancy: latencyLeft 5 */
v_mfma_f64_16x16x4_f64 a[136+0:143+0], v[vgprValuB_X0_I0+4+0+0:vgprValuB_X0_I0+4+0+0+1], v[vgprValuA_X0_I0+8+0+0+2:vgprValuA_X0_I0+8+0+0+2+1], a[136:143]
 // Ci += Ai*Br
/*  mfmaIndex:38  */
/* localReadsVacancy: latencyLeft 5 */
v_mfma_f64_16x16x4_f64 a[40+0:47+0], v[vgprValuB_X0_I0+4+0+0+2:vgprValuB_X0_I0+4+0+0+2+1], v[120:121], a[40:47]
 // Cr += -Ai*Bi
/*  mfmaIndex:39  */
/* localReadsVacancy: latencyLeft 5 */
v_mfma_f64_16x16x4_f64 a[136+0:143+0], v[vgprValuB_X0_I0+4+0+0+2:vgprValuB_X0_I0+4+0+0+2+1], v[vgprValuA_X0_I0+8+0+0:vgprValuA_X0_I0+8+0+0+1], a[136:143]
 // Ci += Ar*Bi
/*  mfmaIndex:40  */
/* localReadsVacancy: latencyLeft 5 */
	;; [unrolled: 16-line block ×3, first 2 shown]
v_mfma_f64_16x16x4_f64 a[88+0:95+0], v[vgprValuB_X0_I0+12+0+0:vgprValuB_X0_I0+12+0+0+1], v[vgprValuA_X0_I0+8+0+0:vgprValuA_X0_I0+8+0+0+1], a[88:95]
 // Cr += Ar*Br
/*  mfmaIndex:45  */
/* localReadsVacancy: latencyLeft 5 */
v_mfma_f64_16x16x4_f64 a[184+0:191+0], v[vgprValuB_X0_I0+12+0+0:vgprValuB_X0_I0+12+0+0+1], v[vgprValuA_X0_I0+8+0+0+2:vgprValuA_X0_I0+8+0+0+2+1], a[184:191]
 // Ci += Ai*Br
/*  mfmaIndex:46  */
/* localReadsVacancy: latencyLeft 5 */
v_mfma_f64_16x16x4_f64 a[88+0:95+0], v[vgprValuB_X0_I0+12+0+0+2:vgprValuB_X0_I0+12+0+0+2+1], v[120:121], a[88:95]
 // Cr += -Ai*Bi
/*  mfmaIndex:47  */
/* localReadsVacancy: latencyLeft 5 */
v_mfma_f64_16x16x4_f64 a[184+0:191+0], v[vgprValuB_X0_I0+12+0+0+2:vgprValuB_X0_I0+12+0+0+2+1], v[vgprValuA_X0_I0+8+0+0:vgprValuA_X0_I0+8+0+0+1], a[184:191]
 // Ci += Ar*Bi
/* numPrefetchIter=0 */
/* dataAtIterA=-1 numReadsIterA=1 skipReadsIterA=1 readsPerIterA=3 */
/* dataAtIterB=-1 numReadsIterB=1 skipReadsIterB=1 readsPerIterB=4 */


/* iter 1 */

/*  grEndMfmaIndex:6, lwStartMfmaIndex:109, lwEndMfmaIndex:178  */
/*  numMfmaForLR:11, barrierMfmaIndex:180, LocalWritePerMfma:0.190 */
/*  mfmaIndex:48  */
_ds_load_b128 v[vgprValuA_X0_I0+0:vgprValuA_X0_I0+0+3], v[vgprLocalReadAddrA] offset:128 // L -> Reg lro=8 swapByteOffset=0 ti=32 vIdx=0 rIdx=0 oIdx=0 buffer=0 iui=0
s_waitcnt lgkmcnt(1)                               // lgkmcnt=0 vmcnt=-1wait for prior local read local write old=0, new=1 newLW=0 newLR=1
v_add_f64 v[120:121], -v[vgprValuA_X1_I0+0+0+0+2:vgprValuA_X1_I0+0+0+0+2+1], 0 // Ai=-Ai
v_mfma_f64_16x16x4_f64 a[0+0:7+0], v[vgprValuB_X1_I0+0+0+0:vgprValuB_X1_I0+0+0+0+1], v[vgprValuA_X1_I0+0+0+0:vgprValuA_X1_I0+0+0+0+1], a[0:7]
 // Cr += Ar*Br
/*  mfmaIndex:49  */
_ds_load_b128 v[vgprValuB_X0_I0+0:vgprValuB_X0_I0+0+3], v[vgprLocalReadAddrB] offset:16384 // L -> Reg lro=1024 swapByteOffset=0 ti=32 vIdx=0 rIdx=0 oIdx=0 buffer=0 iui=0
v_mfma_f64_16x16x4_f64 a[96+0:103+0], v[vgprValuB_X1_I0+0+0+0:vgprValuB_X1_I0+0+0+0+1], v[vgprValuA_X1_I0+0+0+0+2:vgprValuA_X1_I0+0+0+0+2+1], a[96:103]
 // Ci += Ai*Br
/*  mfmaIndex:50  */
_ds_load_b128 v[vgprValuA_X0_I0+4:vgprValuA_X0_I0+4+3], v[vgprLocalReadAddrA] offset:9344 // L -> Reg lro=8 swapByteOffset=0 ti=32 vIdx=1 rIdx=0 oIdx=0 buffer=0 iui=0
v_mfma_f64_16x16x4_f64 a[0+0:7+0], v[vgprValuB_X1_I0+0+0+0+2:vgprValuB_X1_I0+0+0+0+2+1], v[120:121], a[0:7]
 // Cr += -Ai*Bi
/*  mfmaIndex:51  */
_ds_load_b128 v[vgprValuA_X0_I0+8:vgprValuA_X0_I0+8+3], v[vgprLocalReadAddrA] offset:18560 // L -> Reg lro=8 swapByteOffset=0 ti=32 vIdx=2 rIdx=0 oIdx=0 buffer=0 iui=0
v_mfma_f64_16x16x4_f64 a[96+0:103+0], v[vgprValuB_X1_I0+0+0+0+2:vgprValuB_X1_I0+0+0+0+2+1], v[vgprValuA_X1_I0+0+0+0:vgprValuA_X1_I0+0+0+0+1], a[96:103]
 // Ci += Ar*Bi
/*  mfmaIndex:52  */
_ds_load_b128 v[vgprValuB_X0_I0+4:vgprValuB_X0_I0+4+3], v[vgprLocalReadAddrB] offset:16896 // L -> Reg lro=1024 swapByteOffset=0 ti=32 vIdx=1 rIdx=0 oIdx=0 buffer=0 iui=0
v_mfma_f64_16x16x4_f64 a[24+0:31+0], v[vgprValuB_X1_I0+4+0+0:vgprValuB_X1_I0+4+0+0+1], v[vgprValuA_X1_I0+0+0+0:vgprValuA_X1_I0+0+0+0+1], a[24:31]
 // Cr += Ar*Br
/*  mfmaIndex:53  */
_ds_load_b128 v[vgprValuB_X0_I0+8:vgprValuB_X0_I0+8+3], v[vgprLocalReadAddrB] offset:17408 // L -> Reg lro=1024 swapByteOffset=0 ti=32 vIdx=2 rIdx=0 oIdx=0 buffer=0 iui=0
v_mfma_f64_16x16x4_f64 a[120+0:127+0], v[vgprValuB_X1_I0+4+0+0:vgprValuB_X1_I0+4+0+0+1], v[vgprValuA_X1_I0+0+0+0+2:vgprValuA_X1_I0+0+0+0+2+1], a[120:127]
 // Ci += Ai*Br
/*  mfmaIndex:54  */
_ds_load_b128 v[vgprValuB_X0_I0+12:vgprValuB_X0_I0+12+3], v[vgprLocalReadAddrB] offset:17920 // L -> Reg lro=1024 swapByteOffset=0 ti=32 vIdx=3 rIdx=0 oIdx=0 buffer=0 iui=0
/* localReadsVacancy: latencyLeft 1 */
v_mfma_f64_16x16x4_f64 a[24+0:31+0], v[vgprValuB_X1_I0+4+0+0+2:vgprValuB_X1_I0+4+0+0+2+1], v[120:121], a[24:31]
 // Cr += -Ai*Bi
/*  mfmaIndex:55  */
/* localReadsVacancy: latencyLeft 5 */
v_mfma_f64_16x16x4_f64 a[120+0:127+0], v[vgprValuB_X1_I0+4+0+0+2:vgprValuB_X1_I0+4+0+0+2+1], v[vgprValuA_X1_I0+0+0+0:vgprValuA_X1_I0+0+0+0+1], a[120:127]
 // Ci += Ar*Bi
/*  mfmaIndex:56  */
/* localReadsVacancy: latencyLeft 5 */
v_mfma_f64_16x16x4_f64 a[48+0:55+0], v[vgprValuB_X1_I0+8+0+0:vgprValuB_X1_I0+8+0+0+1], v[vgprValuA_X1_I0+0+0+0:vgprValuA_X1_I0+0+0+0+1], a[48:55]
 // Cr += Ar*Br
/*  mfmaIndex:57  */
/* localReadsVacancy: latencyLeft 5 */
v_mfma_f64_16x16x4_f64 a[144+0:151+0], v[vgprValuB_X1_I0+8+0+0:vgprValuB_X1_I0+8+0+0+1], v[vgprValuA_X1_I0+0+0+0+2:vgprValuA_X1_I0+0+0+0+2+1], a[144:151]
 // Ci += Ai*Br
/*  mfmaIndex:58  */
/* localReadsVacancy: latencyLeft 5 */
v_mfma_f64_16x16x4_f64 a[48+0:55+0], v[vgprValuB_X1_I0+8+0+0+2:vgprValuB_X1_I0+8+0+0+2+1], v[120:121], a[48:55]
 // Cr += -Ai*Bi
/*  mfmaIndex:59  */
/* localReadsVacancy: latencyLeft 5 */
v_mfma_f64_16x16x4_f64 a[144+0:151+0], v[vgprValuB_X1_I0+8+0+0+2:vgprValuB_X1_I0+8+0+0+2+1], v[vgprValuA_X1_I0+0+0+0:vgprValuA_X1_I0+0+0+0+1], a[144:151]
 // Ci += Ar*Bi
/*  mfmaIndex:60  */
/* localReadsVacancy: latencyLeft 5 */
v_mfma_f64_16x16x4_f64 a[72+0:79+0], v[vgprValuB_X1_I0+12+0+0:vgprValuB_X1_I0+12+0+0+1], v[vgprValuA_X1_I0+0+0+0:vgprValuA_X1_I0+0+0+0+1], a[72:79]
 // Cr += Ar*Br
/*  mfmaIndex:61  */
/* localReadsVacancy: latencyLeft 5 */
v_mfma_f64_16x16x4_f64 a[168+0:175+0], v[vgprValuB_X1_I0+12+0+0:vgprValuB_X1_I0+12+0+0+1], v[vgprValuA_X1_I0+0+0+0+2:vgprValuA_X1_I0+0+0+0+2+1], a[168:175]
 // Ci += Ai*Br
/*  mfmaIndex:62  */
/* localReadsVacancy: latencyLeft 5 */
v_mfma_f64_16x16x4_f64 a[72+0:79+0], v[vgprValuB_X1_I0+12+0+0+2:vgprValuB_X1_I0+12+0+0+2+1], v[120:121], a[72:79]
 // Cr += -Ai*Bi
/*  mfmaIndex:63  */
/* localReadsVacancy: latencyLeft 5 */
v_mfma_f64_16x16x4_f64 a[168+0:175+0], v[vgprValuB_X1_I0+12+0+0+2:vgprValuB_X1_I0+12+0+0+2+1], v[vgprValuA_X1_I0+0+0+0:vgprValuA_X1_I0+0+0+0+1], a[168:175]
 // Ci += Ar*Bi
/*  mfmaIndex:64  */
/* localReadsVacancy: latencyLeft 5 */
v_add_f64 v[120:121], -v[vgprValuA_X1_I0+4+0+0+2:vgprValuA_X1_I0+4+0+0+2+1], 0 // Ai=-Ai
v_mfma_f64_16x16x4_f64 a[8+0:15+0], v[vgprValuB_X1_I0+0+0+0:vgprValuB_X1_I0+0+0+0+1], v[vgprValuA_X1_I0+4+0+0:vgprValuA_X1_I0+4+0+0+1], a[8:15]
 // Cr += Ar*Br
/*  mfmaIndex:65  */
/* localReadsVacancy: latencyLeft 5 */
v_mfma_f64_16x16x4_f64 a[104+0:111+0], v[vgprValuB_X1_I0+0+0+0:vgprValuB_X1_I0+0+0+0+1], v[vgprValuA_X1_I0+4+0+0+2:vgprValuA_X1_I0+4+0+0+2+1], a[104:111]
 // Ci += Ai*Br
/*  mfmaIndex:66  */
/* localReadsVacancy: latencyLeft 5 */
v_mfma_f64_16x16x4_f64 a[8+0:15+0], v[vgprValuB_X1_I0+0+0+0+2:vgprValuB_X1_I0+0+0+0+2+1], v[120:121], a[8:15]
 // Cr += -Ai*Bi
/*  mfmaIndex:67  */
/* localReadsVacancy: latencyLeft 5 */
v_mfma_f64_16x16x4_f64 a[104+0:111+0], v[vgprValuB_X1_I0+0+0+0+2:vgprValuB_X1_I0+0+0+0+2+1], v[vgprValuA_X1_I0+4+0+0:vgprValuA_X1_I0+4+0+0+1], a[104:111]
 // Ci += Ar*Bi
/*  mfmaIndex:68  */
/* localReadsVacancy: latencyLeft 5 */
v_mfma_f64_16x16x4_f64 a[32+0:39+0], v[vgprValuB_X1_I0+4+0+0:vgprValuB_X1_I0+4+0+0+1], v[vgprValuA_X1_I0+4+0+0:vgprValuA_X1_I0+4+0+0+1], a[32:39]
 // Cr += Ar*Br
/*  mfmaIndex:69  */
/* localReadsVacancy: latencyLeft 5 */
v_mfma_f64_16x16x4_f64 a[128+0:135+0], v[vgprValuB_X1_I0+4+0+0:vgprValuB_X1_I0+4+0+0+1], v[vgprValuA_X1_I0+4+0+0+2:vgprValuA_X1_I0+4+0+0+2+1], a[128:135]
 // Ci += Ai*Br
/*  mfmaIndex:70  */
/* localReadsVacancy: latencyLeft 5 */
v_mfma_f64_16x16x4_f64 a[32+0:39+0], v[vgprValuB_X1_I0+4+0+0+2:vgprValuB_X1_I0+4+0+0+2+1], v[120:121], a[32:39]
 // Cr += -Ai*Bi
/*  mfmaIndex:71  */
/* localReadsVacancy: latencyLeft 5 */
v_mfma_f64_16x16x4_f64 a[128+0:135+0], v[vgprValuB_X1_I0+4+0+0+2:vgprValuB_X1_I0+4+0+0+2+1], v[vgprValuA_X1_I0+4+0+0:vgprValuA_X1_I0+4+0+0+1], a[128:135]
 // Ci += Ar*Bi
/*  mfmaIndex:72  */
/* localReadsVacancy: latencyLeft 5 */
	;; [unrolled: 16-line block ×4, first 2 shown]
v_add_f64 v[120:121], -v[vgprValuA_X1_I0+8+0+0+2:vgprValuA_X1_I0+8+0+0+2+1], 0 // Ai=-Ai
v_mfma_f64_16x16x4_f64 a[16+0:23+0], v[vgprValuB_X1_I0+0+0+0:vgprValuB_X1_I0+0+0+0+1], v[vgprValuA_X1_I0+8+0+0:vgprValuA_X1_I0+8+0+0+1], a[16:23]
 // Cr += Ar*Br
/*  mfmaIndex:81  */
/* localReadsVacancy: latencyLeft 5 */
v_mfma_f64_16x16x4_f64 a[112+0:119+0], v[vgprValuB_X1_I0+0+0+0:vgprValuB_X1_I0+0+0+0+1], v[vgprValuA_X1_I0+8+0+0+2:vgprValuA_X1_I0+8+0+0+2+1], a[112:119]
 // Ci += Ai*Br
/*  mfmaIndex:82  */
/* localReadsVacancy: latencyLeft 5 */
v_mfma_f64_16x16x4_f64 a[16+0:23+0], v[vgprValuB_X1_I0+0+0+0+2:vgprValuB_X1_I0+0+0+0+2+1], v[120:121], a[16:23]
 // Cr += -Ai*Bi
/*  mfmaIndex:83  */
/* localReadsVacancy: latencyLeft 5 */
v_mfma_f64_16x16x4_f64 a[112+0:119+0], v[vgprValuB_X1_I0+0+0+0+2:vgprValuB_X1_I0+0+0+0+2+1], v[vgprValuA_X1_I0+8+0+0:vgprValuA_X1_I0+8+0+0+1], a[112:119]
 // Ci += Ar*Bi
/*  mfmaIndex:84  */
/* localReadsVacancy: latencyLeft 5 */
v_mfma_f64_16x16x4_f64 a[40+0:47+0], v[vgprValuB_X1_I0+4+0+0:vgprValuB_X1_I0+4+0+0+1], v[vgprValuA_X1_I0+8+0+0:vgprValuA_X1_I0+8+0+0+1], a[40:47]
 // Cr += Ar*Br
/*  mfmaIndex:85  */
/* localReadsVacancy: latencyLeft 5 */
v_mfma_f64_16x16x4_f64 a[136+0:143+0], v[vgprValuB_X1_I0+4+0+0:vgprValuB_X1_I0+4+0+0+1], v[vgprValuA_X1_I0+8+0+0+2:vgprValuA_X1_I0+8+0+0+2+1], a[136:143]
 // Ci += Ai*Br
/*  mfmaIndex:86  */
/* localReadsVacancy: latencyLeft 5 */
v_mfma_f64_16x16x4_f64 a[40+0:47+0], v[vgprValuB_X1_I0+4+0+0+2:vgprValuB_X1_I0+4+0+0+2+1], v[120:121], a[40:47]
 // Cr += -Ai*Bi
/*  mfmaIndex:87  */
/* localReadsVacancy: latencyLeft 5 */
v_mfma_f64_16x16x4_f64 a[136+0:143+0], v[vgprValuB_X1_I0+4+0+0+2:vgprValuB_X1_I0+4+0+0+2+1], v[vgprValuA_X1_I0+8+0+0:vgprValuA_X1_I0+8+0+0+1], a[136:143]
 // Ci += Ar*Bi
/*  mfmaIndex:88  */
/* localReadsVacancy: latencyLeft 5 */
	;; [unrolled: 16-line block ×3, first 2 shown]
v_mfma_f64_16x16x4_f64 a[88+0:95+0], v[vgprValuB_X1_I0+12+0+0:vgprValuB_X1_I0+12+0+0+1], v[vgprValuA_X1_I0+8+0+0:vgprValuA_X1_I0+8+0+0+1], a[88:95]
 // Cr += Ar*Br
/*  mfmaIndex:93  */
/* localReadsVacancy: latencyLeft 5 */
v_mfma_f64_16x16x4_f64 a[184+0:191+0], v[vgprValuB_X1_I0+12+0+0:vgprValuB_X1_I0+12+0+0+1], v[vgprValuA_X1_I0+8+0+0+2:vgprValuA_X1_I0+8+0+0+2+1], a[184:191]
 // Ci += Ai*Br
/*  mfmaIndex:94  */
/* localReadsVacancy: latencyLeft 5 */
v_mfma_f64_16x16x4_f64 a[88+0:95+0], v[vgprValuB_X1_I0+12+0+0+2:vgprValuB_X1_I0+12+0+0+2+1], v[120:121], a[88:95]
 // Cr += -Ai*Bi
/*  mfmaIndex:95  */
/* localReadsVacancy: latencyLeft 5 */
v_mfma_f64_16x16x4_f64 a[184+0:191+0], v[vgprValuB_X1_I0+12+0+0+2:vgprValuB_X1_I0+12+0+0+2+1], v[vgprValuA_X1_I0+8+0+0:vgprValuA_X1_I0+8+0+0+1], a[184:191]
 // Ci += Ar*Bi
/* numPrefetchIter=0 */
/* dataAtIterA=0 numReadsIterA=2 skipReadsIterA=1 readsPerIterA=3 */
/* dataAtIterB=0 numReadsIterB=2 skipReadsIterB=1 readsPerIterB=4 */


/* iter 2 (reset local read pointers iteration)  (swap local read pointers iteration)  */

/*  grEndMfmaIndex:6, lwStartMfmaIndex:109, lwEndMfmaIndex:178  */
/*  numMfmaForLR:11, barrierMfmaIndex:180, LocalWritePerMfma:0.190 */
/*  mfmaIndex:96  */
_ds_load_b128 v[vgprValuA_X1_I0+0:vgprValuA_X1_I0+0+3], v[vgprLocalReadAddrA] offset:192 // L -> Reg lro=12 swapByteOffset=0 ti=32 vIdx=0 rIdx=0 oIdx=0 buffer=1 iui=0
s_waitcnt lgkmcnt(1)                               // lgkmcnt=0 vmcnt=-1wait for prior local read local write old=0, new=1 newLW=0 newLR=1
v_add_f64 v[120:121], -v[vgprValuA_X0_I0+0+0+0+2:vgprValuA_X0_I0+0+0+0+2+1], 0 // Ai=-Ai
v_mfma_f64_16x16x4_f64 a[0+0:7+0], v[vgprValuB_X0_I0+0+0+0:vgprValuB_X0_I0+0+0+0+1], v[vgprValuA_X0_I0+0+0+0:vgprValuA_X0_I0+0+0+0+1], a[0:7]
 // Cr += Ar*Br
/*  mfmaIndex:97  */
_ds_load_b128 v[vgprValuB_X1_I0+0:vgprValuB_X1_I0+0+3], v[vgprLocalReadAddrB] offset:24576 // L -> Reg lro=1536 swapByteOffset=0 ti=32 vIdx=0 rIdx=0 oIdx=0 buffer=1 iui=0
v_mfma_f64_16x16x4_f64 a[96+0:103+0], v[vgprValuB_X0_I0+0+0+0:vgprValuB_X0_I0+0+0+0+1], v[vgprValuA_X0_I0+0+0+0+2:vgprValuA_X0_I0+0+0+0+2+1], a[96:103]
 // Ci += Ai*Br
/*  mfmaIndex:98  */
_ds_load_b128 v[vgprValuA_X1_I0+4:vgprValuA_X1_I0+4+3], v[vgprLocalReadAddrA] offset:9408 // L -> Reg lro=12 swapByteOffset=0 ti=32 vIdx=1 rIdx=0 oIdx=0 buffer=1 iui=0
v_mfma_f64_16x16x4_f64 a[0+0:7+0], v[vgprValuB_X0_I0+0+0+0+2:vgprValuB_X0_I0+0+0+0+2+1], v[120:121], a[0:7]
 // Cr += -Ai*Bi
/*  mfmaIndex:99  */
_ds_load_b128 v[vgprValuA_X1_I0+8:vgprValuA_X1_I0+8+3], v[vgprLocalReadAddrA] offset:18624 // L -> Reg lro=12 swapByteOffset=0 ti=32 vIdx=2 rIdx=0 oIdx=0 buffer=1 iui=0
v_mfma_f64_16x16x4_f64 a[96+0:103+0], v[vgprValuB_X0_I0+0+0+0+2:vgprValuB_X0_I0+0+0+0+2+1], v[vgprValuA_X0_I0+0+0+0:vgprValuA_X0_I0+0+0+0+1], a[96:103]
 // Ci += Ar*Bi
/*  mfmaIndex:100  */
_ds_load_b128 v[vgprValuB_X1_I0+4:vgprValuB_X1_I0+4+3], v[vgprLocalReadAddrB] offset:25088 // L -> Reg lro=1536 swapByteOffset=0 ti=32 vIdx=1 rIdx=0 oIdx=0 buffer=1 iui=0
v_mfma_f64_16x16x4_f64 a[24+0:31+0], v[vgprValuB_X0_I0+4+0+0:vgprValuB_X0_I0+4+0+0+1], v[vgprValuA_X0_I0+0+0+0:vgprValuA_X0_I0+0+0+0+1], a[24:31]
 // Cr += Ar*Br
/*  mfmaIndex:101  */
_ds_load_b128 v[vgprValuB_X1_I0+8:vgprValuB_X1_I0+8+3], v[vgprLocalReadAddrB] offset:25600 // L -> Reg lro=1536 swapByteOffset=0 ti=32 vIdx=2 rIdx=0 oIdx=0 buffer=1 iui=0
v_mfma_f64_16x16x4_f64 a[120+0:127+0], v[vgprValuB_X0_I0+4+0+0:vgprValuB_X0_I0+4+0+0+1], v[vgprValuA_X0_I0+0+0+0+2:vgprValuA_X0_I0+0+0+0+2+1], a[120:127]
 // Ci += Ai*Br
/*  mfmaIndex:102  */
_ds_load_b128 v[vgprValuB_X1_I0+12:vgprValuB_X1_I0+12+3], v[vgprLocalReadAddrB] offset:26112 // L -> Reg lro=1536 swapByteOffset=0 ti=32 vIdx=3 rIdx=0 oIdx=0 buffer=1 iui=0
/* localReadsVacancy: latencyLeft 1 */
v_mfma_f64_16x16x4_f64 a[24+0:31+0], v[vgprValuB_X0_I0+4+0+0+2:vgprValuB_X0_I0+4+0+0+2+1], v[120:121], a[24:31]
 // Cr += -Ai*Bi
/*  mfmaIndex:103  */
/* localReadsVacancy: latencyLeft 5 */
v_mfma_f64_16x16x4_f64 a[120+0:127+0], v[vgprValuB_X0_I0+4+0+0+2:vgprValuB_X0_I0+4+0+0+2+1], v[vgprValuA_X0_I0+0+0+0:vgprValuA_X0_I0+0+0+0+1], a[120:127]
 // Ci += Ar*Bi
/*  mfmaIndex:104  */
/* localReadsVacancy: latencyLeft 5 */
v_mfma_f64_16x16x4_f64 a[48+0:55+0], v[vgprValuB_X0_I0+8+0+0:vgprValuB_X0_I0+8+0+0+1], v[vgprValuA_X0_I0+0+0+0:vgprValuA_X0_I0+0+0+0+1], a[48:55]
 // Cr += Ar*Br
/*  mfmaIndex:105  */
/* localReadsVacancy: latencyLeft 5 */
v_mfma_f64_16x16x4_f64 a[144+0:151+0], v[vgprValuB_X0_I0+8+0+0:vgprValuB_X0_I0+8+0+0+1], v[vgprValuA_X0_I0+0+0+0+2:vgprValuA_X0_I0+0+0+0+2+1], a[144:151]
 // Ci += Ai*Br
/*  mfmaIndex:106  */
/* localReadsVacancy: latencyLeft 5 */
v_mfma_f64_16x16x4_f64 a[48+0:55+0], v[vgprValuB_X0_I0+8+0+0+2:vgprValuB_X0_I0+8+0+0+2+1], v[120:121], a[48:55]
 // Cr += -Ai*Bi
/*  mfmaIndex:107  */
/* localReadsVacancy: latencyLeft 5 */
v_mfma_f64_16x16x4_f64 a[144+0:151+0], v[vgprValuB_X0_I0+8+0+0+2:vgprValuB_X0_I0+8+0+0+2+1], v[vgprValuA_X0_I0+0+0+0:vgprValuA_X0_I0+0+0+0+1], a[144:151]
 // Ci += Ar*Bi
/*  mfmaIndex:108  */
/* localReadsVacancy: latencyLeft 5 */
/* 1 LDS buffer: read-sync-write */
s_waitcnt lgkmcnt(0)                               // 
s_barrier                                          // 
v_mfma_f64_16x16x4_f64 a[72+0:79+0], v[vgprValuB_X0_I0+12+0+0:vgprValuB_X0_I0+12+0+0+1], v[vgprValuA_X0_I0+0+0+0:vgprValuA_X0_I0+0+0+0+1], a[72:79]
 // Cr += Ar*Br
/*  mfmaIndex:109  */
s_setprio 3                                        // store optimization
/* sched write - iter 2 writesPerItem=1 */
s_waitcnt vmcnt(0)                                 // lgkmcnt=-1 vmcnt=0wait for global read before writing to local
_ds_store_b128 v[vgprLocalWriteAddrA], v[vgprG2LA+0:vgprG2LA+0+3] offset:0 // lwoA_0_0_0_0 = (0*LSCA)*(MT0I+PAD) + (0*LSPA) = 0
v_mfma_f64_16x16x4_f64 a[168+0:175+0], v[vgprValuB_X0_I0+12+0+0:vgprValuB_X0_I0+12+0+0+1], v[vgprValuA_X0_I0+0+0+0+2:vgprValuA_X0_I0+0+0+0+2+1], a[168:175]
 // Ci += Ai*Br
/*  mfmaIndex:110  */
_buffer_load_b128 v[vgprG2LA+0:vgprG2LA+0+3], v[vgprGlobalReadOffsetA+0], s[sgprSrdA:sgprSrdA+3], 0, offen offset:0 // G -> Reg 0_0_0_0
v_mfma_f64_16x16x4_f64 a[72+0:79+0], v[vgprValuB_X0_I0+12+0+0+2:vgprValuB_X0_I0+12+0+0+2+1], v[120:121], a[72:79]
 // Cr += -Ai*Bi
/*  mfmaIndex:111  */
v_mfma_f64_16x16x4_f64 a[168+0:175+0], v[vgprValuB_X0_I0+12+0+0+2:vgprValuB_X0_I0+12+0+0+2+1], v[vgprValuA_X0_I0+0+0+0:vgprValuA_X0_I0+0+0+0+1], a[168:175]
 // Ci += Ar*Bi
/*  mfmaIndex:112  */
v_add_f64 v[120:121], -v[vgprValuA_X0_I0+4+0+0+2:vgprValuA_X0_I0+4+0+0+2+1], 0 // Ai=-Ai
v_mfma_f64_16x16x4_f64 a[8+0:15+0], v[vgprValuB_X0_I0+0+0+0:vgprValuB_X0_I0+0+0+0+1], v[vgprValuA_X0_I0+4+0+0:vgprValuA_X0_I0+4+0+0+1], a[8:15]
 // Cr += Ar*Br
/*  mfmaIndex:113  */
v_mfma_f64_16x16x4_f64 a[104+0:111+0], v[vgprValuB_X0_I0+0+0+0:vgprValuB_X0_I0+0+0+0+1], v[vgprValuA_X0_I0+4+0+0+2:vgprValuA_X0_I0+4+0+0+2+1], a[104:111]
 // Ci += Ai*Br
/*  mfmaIndex:114  */
/* sched write - iter 2 writesPerItem=1 */
s_waitcnt vmcnt(0)                                 // lgkmcnt=-1 vmcnt=0wait for global read before writing to local
_ds_store_b128 v[vgprLocalWriteAddrA], v[vgprG2LA+4:vgprG2LA+4+3] offset:4608 // lwoA_0_0_1_0 = (0*LSCA)*(MT0I+PAD) + (1*LSPA) = 4608
v_mfma_f64_16x16x4_f64 a[8+0:15+0], v[vgprValuB_X0_I0+0+0+0+2:vgprValuB_X0_I0+0+0+0+2+1], v[120:121], a[8:15]
 // Cr += -Ai*Bi
/*  mfmaIndex:115  */
_buffer_load_b128 v[vgprG2LA+4:vgprG2LA+4+3], v[vgprGlobalReadOffsetA+0], s[sgprSrdA:sgprSrdA+3], s[sgprScalarGlobalReadOffsetA+0], offen offset:0 // G -> Reg 0_0_1_0
v_mfma_f64_16x16x4_f64 a[104+0:111+0], v[vgprValuB_X0_I0+0+0+0+2:vgprValuB_X0_I0+0+0+0+2+1], v[vgprValuA_X0_I0+4+0+0:vgprValuA_X0_I0+4+0+0+1], a[104:111]
 // Ci += Ar*Bi
/*  mfmaIndex:116  */
v_mfma_f64_16x16x4_f64 a[32+0:39+0], v[vgprValuB_X0_I0+4+0+0:vgprValuB_X0_I0+4+0+0+1], v[vgprValuA_X0_I0+4+0+0:vgprValuA_X0_I0+4+0+0+1], a[32:39]
 // Cr += Ar*Br
/*  mfmaIndex:117  */
v_mfma_f64_16x16x4_f64 a[128+0:135+0], v[vgprValuB_X0_I0+4+0+0:vgprValuB_X0_I0+4+0+0+1], v[vgprValuA_X0_I0+4+0+0+2:vgprValuA_X0_I0+4+0+0+2+1], a[128:135]
 // Ci += Ai*Br
/*  mfmaIndex:118  */
v_mfma_f64_16x16x4_f64 a[32+0:39+0], v[vgprValuB_X0_I0+4+0+0+2:vgprValuB_X0_I0+4+0+0+2+1], v[120:121], a[32:39]
 // Cr += -Ai*Bi
/*  mfmaIndex:119  */
/* sched write - iter 2 writesPerItem=1 */
s_waitcnt vmcnt(0)                                 // lgkmcnt=-1 vmcnt=0wait for global read before writing to local
_ds_store_b128 v[vgprLocalWriteAddrA], v[vgprG2LA+8:vgprG2LA+8+3] offset:9216 // lwoA_0_0_2_0 = (0*LSCA)*(MT0I+PAD) + (2*LSPA) = 9216
v_mfma_f64_16x16x4_f64 a[128+0:135+0], v[vgprValuB_X0_I0+4+0+0+2:vgprValuB_X0_I0+4+0+0+2+1], v[vgprValuA_X0_I0+4+0+0:vgprValuA_X0_I0+4+0+0+1], a[128:135]
 // Ci += Ar*Bi
/*  mfmaIndex:120  */
_buffer_load_b128 v[vgprG2LA+8:vgprG2LA+8+3], v[vgprGlobalReadOffsetA+0], s[sgprSrdA:sgprSrdA+3], s[sgprScalarGlobalReadOffsetA+1], offen offset:0 // G -> Reg 0_0_2_0
v_mfma_f64_16x16x4_f64 a[56+0:63+0], v[vgprValuB_X0_I0+8+0+0:vgprValuB_X0_I0+8+0+0+1], v[vgprValuA_X0_I0+4+0+0:vgprValuA_X0_I0+4+0+0+1], a[56:63]
 // Cr += Ar*Br
/*  mfmaIndex:121  */
v_mfma_f64_16x16x4_f64 a[152+0:159+0], v[vgprValuB_X0_I0+8+0+0:vgprValuB_X0_I0+8+0+0+1], v[vgprValuA_X0_I0+4+0+0+2:vgprValuA_X0_I0+4+0+0+2+1], a[152:159]
 // Ci += Ai*Br
/*  mfmaIndex:122  */
v_mfma_f64_16x16x4_f64 a[56+0:63+0], v[vgprValuB_X0_I0+8+0+0+2:vgprValuB_X0_I0+8+0+0+2+1], v[120:121], a[56:63]
 // Cr += -Ai*Bi
/*  mfmaIndex:123  */
v_mfma_f64_16x16x4_f64 a[152+0:159+0], v[vgprValuB_X0_I0+8+0+0+2:vgprValuB_X0_I0+8+0+0+2+1], v[vgprValuA_X0_I0+4+0+0:vgprValuA_X0_I0+4+0+0+1], a[152:159]
 // Ci += Ar*Bi
/*  mfmaIndex:124  */
/* sched write - iter 2 writesPerItem=1 */
s_waitcnt vmcnt(0)                                 // lgkmcnt=-1 vmcnt=0wait for global read before writing to local
_ds_store_b128 v[vgprLocalWriteAddrA], v[vgprG2LA+12:vgprG2LA+12+3] offset:13824 // lwoA_0_0_3_0 = (0*LSCA)*(MT0I+PAD) + (3*LSPA) = 13824
v_mfma_f64_16x16x4_f64 a[80+0:87+0], v[vgprValuB_X0_I0+12+0+0:vgprValuB_X0_I0+12+0+0+1], v[vgprValuA_X0_I0+4+0+0:vgprValuA_X0_I0+4+0+0+1], a[80:87]
 // Cr += Ar*Br
/*  mfmaIndex:125  */
_buffer_load_b128 v[vgprG2LA+12:vgprG2LA+12+3], v[vgprGlobalReadOffsetA+0], s[sgprSrdA:sgprSrdA+3], s[sgprScalarGlobalReadOffsetA+2], offen offset:0 // G -> Reg 0_0_3_0
v_mfma_f64_16x16x4_f64 a[176+0:183+0], v[vgprValuB_X0_I0+12+0+0:vgprValuB_X0_I0+12+0+0+1], v[vgprValuA_X0_I0+4+0+0+2:vgprValuA_X0_I0+4+0+0+2+1], a[176:183]
 // Ci += Ai*Br
/*  mfmaIndex:126  */
v_mfma_f64_16x16x4_f64 a[80+0:87+0], v[vgprValuB_X0_I0+12+0+0+2:vgprValuB_X0_I0+12+0+0+2+1], v[120:121], a[80:87]
 // Cr += -Ai*Bi
/*  mfmaIndex:127  */
v_mfma_f64_16x16x4_f64 a[176+0:183+0], v[vgprValuB_X0_I0+12+0+0+2:vgprValuB_X0_I0+12+0+0+2+1], v[vgprValuA_X0_I0+4+0+0:vgprValuA_X0_I0+4+0+0+1], a[176:183]
 // Ci += Ar*Bi
/*  mfmaIndex:128  */
v_add_f64 v[120:121], -v[vgprValuA_X0_I0+8+0+0+2:vgprValuA_X0_I0+8+0+0+2+1], 0 // Ai=-Ai
v_mfma_f64_16x16x4_f64 a[16+0:23+0], v[vgprValuB_X0_I0+0+0+0:vgprValuB_X0_I0+0+0+0+1], v[vgprValuA_X0_I0+8+0+0:vgprValuA_X0_I0+8+0+0+1], a[16:23]
 // Cr += Ar*Br
/*  mfmaIndex:129  */
v_mfma_f64_16x16x4_f64 a[112+0:119+0], v[vgprValuB_X0_I0+0+0+0:vgprValuB_X0_I0+0+0+0+1], v[vgprValuA_X0_I0+8+0+0+2:vgprValuA_X0_I0+8+0+0+2+1], a[112:119]
 // Ci += Ai*Br
/*  mfmaIndex:130  */
/* sched write - iter 2 writesPerItem=1 */
s_waitcnt vmcnt(0)                                 // lgkmcnt=-1 vmcnt=0wait for global read before writing to local
_ds_store_b128 v[vgprLocalWriteAddrA], v[vgprG2LA+16:vgprG2LA+16+3] offset:18432 // lwoA_0_0_4_0 = (0*LSCA)*(MT0I+PAD) + (4*LSPA) = 18432
v_mfma_f64_16x16x4_f64 a[16+0:23+0], v[vgprValuB_X0_I0+0+0+0+2:vgprValuB_X0_I0+0+0+0+2+1], v[120:121], a[16:23]
 // Cr += -Ai*Bi
/*  mfmaIndex:131  */
_buffer_load_b128 v[vgprG2LA+16:vgprG2LA+16+3], v[vgprGlobalReadOffsetA+0], s[sgprSrdA:sgprSrdA+3], s[sgprScalarGlobalReadOffsetA+3], offen offset:0 // G -> Reg 0_0_4_0
v_mfma_f64_16x16x4_f64 a[112+0:119+0], v[vgprValuB_X0_I0+0+0+0+2:vgprValuB_X0_I0+0+0+0+2+1], v[vgprValuA_X0_I0+8+0+0:vgprValuA_X0_I0+8+0+0+1], a[112:119]
 // Ci += Ar*Bi
/*  mfmaIndex:132  */
v_mfma_f64_16x16x4_f64 a[40+0:47+0], v[vgprValuB_X0_I0+4+0+0:vgprValuB_X0_I0+4+0+0+1], v[vgprValuA_X0_I0+8+0+0:vgprValuA_X0_I0+8+0+0+1], a[40:47]
 // Cr += Ar*Br
/*  mfmaIndex:133  */
v_mfma_f64_16x16x4_f64 a[136+0:143+0], v[vgprValuB_X0_I0+4+0+0:vgprValuB_X0_I0+4+0+0+1], v[vgprValuA_X0_I0+8+0+0+2:vgprValuA_X0_I0+8+0+0+2+1], a[136:143]
 // Ci += Ai*Br
/*  mfmaIndex:134  */
v_mfma_f64_16x16x4_f64 a[40+0:47+0], v[vgprValuB_X0_I0+4+0+0+2:vgprValuB_X0_I0+4+0+0+2+1], v[120:121], a[40:47]
 // Cr += -Ai*Bi
/*  mfmaIndex:135  */
/* sched write - iter 2 writesPerItem=1 */
s_waitcnt vmcnt(0)                                 // lgkmcnt=-1 vmcnt=0wait for global read before writing to local
_ds_store_b128 v[vgprLocalWriteAddrA], v[vgprG2LA+20:vgprG2LA+20+3] offset:23040 // lwoA_0_0_5_0 = (0*LSCA)*(MT0I+PAD) + (5*LSPA) = 23040
v_mfma_f64_16x16x4_f64 a[136+0:143+0], v[vgprValuB_X0_I0+4+0+0+2:vgprValuB_X0_I0+4+0+0+2+1], v[vgprValuA_X0_I0+8+0+0:vgprValuA_X0_I0+8+0+0+1], a[136:143]
 // Ci += Ar*Bi
/*  mfmaIndex:136  */
_buffer_load_b128 v[vgprG2LA+20:vgprG2LA+20+3], v[vgprGlobalReadOffsetA+0], s[sgprSrdA:sgprSrdA+3], s[sgprScalarGlobalReadOffsetA+4], offen offset:0 // G -> Reg 0_0_5_0
v_mfma_f64_16x16x4_f64 a[64+0:71+0], v[vgprValuB_X0_I0+8+0+0:vgprValuB_X0_I0+8+0+0+1], v[vgprValuA_X0_I0+8+0+0:vgprValuA_X0_I0+8+0+0+1], a[64:71]
 // Cr += Ar*Br
/*  mfmaIndex:137  */
v_mfma_f64_16x16x4_f64 a[160+0:167+0], v[vgprValuB_X0_I0+8+0+0:vgprValuB_X0_I0+8+0+0+1], v[vgprValuA_X0_I0+8+0+0+2:vgprValuA_X0_I0+8+0+0+2+1], a[160:167]
 // Ci += Ai*Br
/*  mfmaIndex:138  */
v_mfma_f64_16x16x4_f64 a[64+0:71+0], v[vgprValuB_X0_I0+8+0+0+2:vgprValuB_X0_I0+8+0+0+2+1], v[120:121], a[64:71]
 // Cr += -Ai*Bi
/*  mfmaIndex:139  */
v_mfma_f64_16x16x4_f64 a[160+0:167+0], v[vgprValuB_X0_I0+8+0+0+2:vgprValuB_X0_I0+8+0+0+2+1], v[vgprValuA_X0_I0+8+0+0:vgprValuA_X0_I0+8+0+0+1], a[160:167]
 // Ci += Ar*Bi
/*  mfmaIndex:140  */
/* sched write - iter 2 writesPerItem=1 */
s_waitcnt vmcnt(0)                                 // lgkmcnt=-1 vmcnt=0wait for global read before writing to local
_ds_store_b128 v[vgprLocalWriteAddrB], v[vgprG2LB+0:vgprG2LB+0+3] offset:0 // lwoB_0_0_0_0 = (0*LSCB) + (0*LSPB)(*MT1J+PAD) = 0
v_mfma_f64_16x16x4_f64 a[88+0:95+0], v[vgprValuB_X0_I0+12+0+0:vgprValuB_X0_I0+12+0+0+1], v[vgprValuA_X0_I0+8+0+0:vgprValuA_X0_I0+8+0+0+1], a[88:95]
 // Cr += Ar*Br
/*  mfmaIndex:141  */
_buffer_load_b128 v[vgprG2LB+0:vgprG2LB+0+3], v[vgprGlobalReadOffsetB+0], s[sgprSrdB:sgprSrdB+3], 0, offen offset:0 // G -> Reg 0_0_0_0
v_mfma_f64_16x16x4_f64 a[184+0:191+0], v[vgprValuB_X0_I0+12+0+0:vgprValuB_X0_I0+12+0+0+1], v[vgprValuA_X0_I0+8+0+0+2:vgprValuA_X0_I0+8+0+0+2+1], a[184:191]
 // Ci += Ai*Br
/*  mfmaIndex:142  */
v_mfma_f64_16x16x4_f64 a[88+0:95+0], v[vgprValuB_X0_I0+12+0+0+2:vgprValuB_X0_I0+12+0+0+2+1], v[120:121], a[88:95]
 // Cr += -Ai*Bi
/*  mfmaIndex:143  */

/* local read swap offsets a */

/* local read swap offsets b */

/* local read init pointers a */

/* localReadInitPointers */

/* local read init pointers b */

/* localReadInitPointers */
v_mfma_f64_16x16x4_f64 a[184+0:191+0], v[vgprValuB_X0_I0+12+0+0+2:vgprValuB_X0_I0+12+0+0+2+1], v[vgprValuA_X0_I0+8+0+0:vgprValuA_X0_I0+8+0+0+1], a[184:191]
 // Ci += Ar*Bi
/* numPrefetchIter=0 */
/* dataAtIterA=1 numReadsIterA=3 skipReadsIterA=1 readsPerIterA=3 */
/* dataAtIterB=1 numReadsIterB=3 skipReadsIterB=1 readsPerIterB=4 */


/* iter 3 (swap and reset local write pointers iteration)  */

/*  grEndMfmaIndex:6, lwStartMfmaIndex:109, lwEndMfmaIndex:178  */
/*  numMfmaForLR:11, barrierMfmaIndex:180, LocalWritePerMfma:0.190 */
/*  mfmaIndex:144  */
s_waitcnt lgkmcnt(7)                               // lgkmcnt=0 vmcnt=-1wait for prior local read local write old=0, new=7 newLW=7 newLR=0
v_add_f64 v[120:121], -v[vgprValuA_X1_I0+0+0+0+2:vgprValuA_X1_I0+0+0+0+2+1], 0 // Ai=-Ai
v_mfma_f64_16x16x4_f64 a[0+0:7+0], v[vgprValuB_X1_I0+0+0+0:vgprValuB_X1_I0+0+0+0+1], v[vgprValuA_X1_I0+0+0+0:vgprValuA_X1_I0+0+0+0+1], a[0:7]
 // Cr += Ar*Br
/*  mfmaIndex:145  */
/* sched write - iter 3 writesPerItem=1 */
s_waitcnt vmcnt(0)                                 // lgkmcnt=-1 vmcnt=0wait for global read before writing to local
_ds_store_b128 v[vgprLocalWriteAddrB], v[vgprG2LB+4:vgprG2LB+4+3] offset:4096 // lwoB_0_0_1_0 = (0*LSCB) + (1*LSPB)(*MT1J+PAD) = 4096
v_mfma_f64_16x16x4_f64 a[96+0:103+0], v[vgprValuB_X1_I0+0+0+0:vgprValuB_X1_I0+0+0+0+1], v[vgprValuA_X1_I0+0+0+0+2:vgprValuA_X1_I0+0+0+0+2+1], a[96:103]
 // Ci += Ai*Br
/*  mfmaIndex:146  */
_buffer_load_b128 v[vgprG2LB+4:vgprG2LB+4+3], v[vgprGlobalReadOffsetB+0], s[sgprSrdB:sgprSrdB+3], s[sgprScalarGlobalReadOffsetB+0], offen offset:0 // G -> Reg 0_0_1_0
v_mfma_f64_16x16x4_f64 a[0+0:7+0], v[vgprValuB_X1_I0+0+0+0+2:vgprValuB_X1_I0+0+0+0+2+1], v[120:121], a[0:7]
 // Cr += -Ai*Bi
/*  mfmaIndex:147  */
v_mfma_f64_16x16x4_f64 a[96+0:103+0], v[vgprValuB_X1_I0+0+0+0+2:vgprValuB_X1_I0+0+0+0+2+1], v[vgprValuA_X1_I0+0+0+0:vgprValuA_X1_I0+0+0+0+1], a[96:103]
 // Ci += Ar*Bi
/*  mfmaIndex:148  */
v_mfma_f64_16x16x4_f64 a[24+0:31+0], v[vgprValuB_X1_I0+4+0+0:vgprValuB_X1_I0+4+0+0+1], v[vgprValuA_X1_I0+0+0+0:vgprValuA_X1_I0+0+0+0+1], a[24:31]
 // Cr += Ar*Br
/*  mfmaIndex:149  */
v_mfma_f64_16x16x4_f64 a[120+0:127+0], v[vgprValuB_X1_I0+4+0+0:vgprValuB_X1_I0+4+0+0+1], v[vgprValuA_X1_I0+0+0+0+2:vgprValuA_X1_I0+0+0+0+2+1], a[120:127]
 // Ci += Ai*Br
/*  mfmaIndex:150  */
v_mfma_f64_16x16x4_f64 a[24+0:31+0], v[vgprValuB_X1_I0+4+0+0+2:vgprValuB_X1_I0+4+0+0+2+1], v[120:121], a[24:31]
 // Cr += -Ai*Bi
/*  mfmaIndex:151  */
/* sched write - iter 3 writesPerItem=1 */
s_waitcnt vmcnt(0)                                 // lgkmcnt=-1 vmcnt=0wait for global read before writing to local
_ds_store_b128 v[vgprLocalWriteAddrB], v[vgprG2LB+8:vgprG2LB+8+3] offset:8192 // lwoB_0_0_2_0 = (0*LSCB) + (2*LSPB)(*MT1J+PAD) = 8192
v_mfma_f64_16x16x4_f64 a[120+0:127+0], v[vgprValuB_X1_I0+4+0+0+2:vgprValuB_X1_I0+4+0+0+2+1], v[vgprValuA_X1_I0+0+0+0:vgprValuA_X1_I0+0+0+0+1], a[120:127]
 // Ci += Ar*Bi
/*  mfmaIndex:152  */
_buffer_load_b128 v[vgprG2LB+8:vgprG2LB+8+3], v[vgprGlobalReadOffsetB+0], s[sgprSrdB:sgprSrdB+3], s[sgprScalarGlobalReadOffsetB+1], offen offset:0 // G -> Reg 0_0_2_0
v_mfma_f64_16x16x4_f64 a[48+0:55+0], v[vgprValuB_X1_I0+8+0+0:vgprValuB_X1_I0+8+0+0+1], v[vgprValuA_X1_I0+0+0+0:vgprValuA_X1_I0+0+0+0+1], a[48:55]
 // Cr += Ar*Br
/*  mfmaIndex:153  */
v_mfma_f64_16x16x4_f64 a[144+0:151+0], v[vgprValuB_X1_I0+8+0+0:vgprValuB_X1_I0+8+0+0+1], v[vgprValuA_X1_I0+0+0+0+2:vgprValuA_X1_I0+0+0+0+2+1], a[144:151]
 // Ci += Ai*Br
/*  mfmaIndex:154  */
v_mfma_f64_16x16x4_f64 a[48+0:55+0], v[vgprValuB_X1_I0+8+0+0+2:vgprValuB_X1_I0+8+0+0+2+1], v[120:121], a[48:55]
 // Cr += -Ai*Bi
/*  mfmaIndex:155  */
v_mfma_f64_16x16x4_f64 a[144+0:151+0], v[vgprValuB_X1_I0+8+0+0+2:vgprValuB_X1_I0+8+0+0+2+1], v[vgprValuA_X1_I0+0+0+0:vgprValuA_X1_I0+0+0+0+1], a[144:151]
 // Ci += Ar*Bi
/*  mfmaIndex:156  */
/* sched write - iter 3 writesPerItem=1 */
s_waitcnt vmcnt(0)                                 // lgkmcnt=-1 vmcnt=0wait for global read before writing to local
_ds_store_b128 v[vgprLocalWriteAddrB], v[vgprG2LB+12:vgprG2LB+12+3] offset:12288 // lwoB_0_0_3_0 = (0*LSCB) + (3*LSPB)(*MT1J+PAD) = 12288
v_mfma_f64_16x16x4_f64 a[72+0:79+0], v[vgprValuB_X1_I0+12+0+0:vgprValuB_X1_I0+12+0+0+1], v[vgprValuA_X1_I0+0+0+0:vgprValuA_X1_I0+0+0+0+1], a[72:79]
 // Cr += Ar*Br
/*  mfmaIndex:157  */
_buffer_load_b128 v[vgprG2LB+12:vgprG2LB+12+3], v[vgprGlobalReadOffsetB+0], s[sgprSrdB:sgprSrdB+3], s[sgprScalarGlobalReadOffsetB+2], offen offset:0 // G -> Reg 0_0_3_0
v_mfma_f64_16x16x4_f64 a[168+0:175+0], v[vgprValuB_X1_I0+12+0+0:vgprValuB_X1_I0+12+0+0+1], v[vgprValuA_X1_I0+0+0+0+2:vgprValuA_X1_I0+0+0+0+2+1], a[168:175]
 // Ci += Ai*Br
/*  mfmaIndex:158  */
v_mfma_f64_16x16x4_f64 a[72+0:79+0], v[vgprValuB_X1_I0+12+0+0+2:vgprValuB_X1_I0+12+0+0+2+1], v[120:121], a[72:79]
 // Cr += -Ai*Bi
/*  mfmaIndex:159  */
v_mfma_f64_16x16x4_f64 a[168+0:175+0], v[vgprValuB_X1_I0+12+0+0+2:vgprValuB_X1_I0+12+0+0+2+1], v[vgprValuA_X1_I0+0+0+0:vgprValuA_X1_I0+0+0+0+1], a[168:175]
 // Ci += Ar*Bi
/*  mfmaIndex:160  */
v_add_f64 v[120:121], -v[vgprValuA_X1_I0+4+0+0+2:vgprValuA_X1_I0+4+0+0+2+1], 0 // Ai=-Ai
v_mfma_f64_16x16x4_f64 a[8+0:15+0], v[vgprValuB_X1_I0+0+0+0:vgprValuB_X1_I0+0+0+0+1], v[vgprValuA_X1_I0+4+0+0:vgprValuA_X1_I0+4+0+0+1], a[8:15]
 // Cr += Ar*Br
/*  mfmaIndex:161  */
/* sched write - iter 3 writesPerItem=1 */
s_waitcnt vmcnt(0)                                 // lgkmcnt=-1 vmcnt=0wait for global read before writing to local
_ds_store_b128 v[vgprLocalWriteAddrB], v[vgprG2LB+16:vgprG2LB+16+3] offset:16384 // lwoB_0_0_4_0 = (0*LSCB) + (4*LSPB)(*MT1J+PAD) = 16384
v_mfma_f64_16x16x4_f64 a[104+0:111+0], v[vgprValuB_X1_I0+0+0+0:vgprValuB_X1_I0+0+0+0+1], v[vgprValuA_X1_I0+4+0+0+2:vgprValuA_X1_I0+4+0+0+2+1], a[104:111]
 // Ci += Ai*Br
/*  mfmaIndex:162  */
_buffer_load_b128 v[vgprG2LB+16:vgprG2LB+16+3], v[vgprGlobalReadOffsetB+0], s[sgprSrdB:sgprSrdB+3], s[sgprScalarGlobalReadOffsetB+3], offen offset:0 // G -> Reg 0_0_4_0
v_mfma_f64_16x16x4_f64 a[8+0:15+0], v[vgprValuB_X1_I0+0+0+0+2:vgprValuB_X1_I0+0+0+0+2+1], v[120:121], a[8:15]
 // Cr += -Ai*Bi
/*  mfmaIndex:163  */
v_mfma_f64_16x16x4_f64 a[104+0:111+0], v[vgprValuB_X1_I0+0+0+0+2:vgprValuB_X1_I0+0+0+0+2+1], v[vgprValuA_X1_I0+4+0+0:vgprValuA_X1_I0+4+0+0+1], a[104:111]
 // Ci += Ar*Bi
/*  mfmaIndex:164  */
v_mfma_f64_16x16x4_f64 a[32+0:39+0], v[vgprValuB_X1_I0+4+0+0:vgprValuB_X1_I0+4+0+0+1], v[vgprValuA_X1_I0+4+0+0:vgprValuA_X1_I0+4+0+0+1], a[32:39]
 // Cr += Ar*Br
/*  mfmaIndex:165  */
v_mfma_f64_16x16x4_f64 a[128+0:135+0], v[vgprValuB_X1_I0+4+0+0:vgprValuB_X1_I0+4+0+0+1], v[vgprValuA_X1_I0+4+0+0+2:vgprValuA_X1_I0+4+0+0+2+1], a[128:135]
 // Ci += Ai*Br
/*  mfmaIndex:166  */
/* sched write - iter 3 writesPerItem=1 */
s_waitcnt vmcnt(0)                                 // lgkmcnt=-1 vmcnt=0wait for global read before writing to local
_ds_store_b128 v[vgprLocalWriteAddrB], v[vgprG2LB+20:vgprG2LB+20+3] offset:20480 // lwoB_0_0_5_0 = (0*LSCB) + (5*LSPB)(*MT1J+PAD) = 20480
v_mfma_f64_16x16x4_f64 a[32+0:39+0], v[vgprValuB_X1_I0+4+0+0+2:vgprValuB_X1_I0+4+0+0+2+1], v[120:121], a[32:39]
 // Cr += -Ai*Bi
/*  mfmaIndex:167  */
_buffer_load_b128 v[vgprG2LB+20:vgprG2LB+20+3], v[vgprGlobalReadOffsetB+0], s[sgprSrdB:sgprSrdB+3], s[sgprScalarGlobalReadOffsetB+4], offen offset:0 // G -> Reg 0_0_5_0
v_mfma_f64_16x16x4_f64 a[128+0:135+0], v[vgprValuB_X1_I0+4+0+0+2:vgprValuB_X1_I0+4+0+0+2+1], v[vgprValuA_X1_I0+4+0+0:vgprValuA_X1_I0+4+0+0+1], a[128:135]
 // Ci += Ar*Bi
/*  mfmaIndex:168  */
v_mfma_f64_16x16x4_f64 a[56+0:63+0], v[vgprValuB_X1_I0+8+0+0:vgprValuB_X1_I0+8+0+0+1], v[vgprValuA_X1_I0+4+0+0:vgprValuA_X1_I0+4+0+0+1], a[56:63]
 // Cr += Ar*Br
/*  mfmaIndex:169  */
v_mfma_f64_16x16x4_f64 a[152+0:159+0], v[vgprValuB_X1_I0+8+0+0:vgprValuB_X1_I0+8+0+0+1], v[vgprValuA_X1_I0+4+0+0+2:vgprValuA_X1_I0+4+0+0+2+1], a[152:159]
 // Ci += Ai*Br
/*  mfmaIndex:170  */
v_mfma_f64_16x16x4_f64 a[56+0:63+0], v[vgprValuB_X1_I0+8+0+0+2:vgprValuB_X1_I0+8+0+0+2+1], v[120:121], a[56:63]
 // Cr += -Ai*Bi
/*  mfmaIndex:171  */
v_mfma_f64_16x16x4_f64 a[152+0:159+0], v[vgprValuB_X1_I0+8+0+0+2:vgprValuB_X1_I0+8+0+0+2+1], v[vgprValuA_X1_I0+4+0+0:vgprValuA_X1_I0+4+0+0+1], a[152:159]
 // Ci += Ar*Bi
/*  mfmaIndex:172  */
/* sched write - iter 3 writesPerItem=1 */
s_waitcnt vmcnt(0)                                 // lgkmcnt=-1 vmcnt=0wait for global read before writing to local
_ds_store_b128 v[vgprLocalWriteAddrB], v[vgprG2LB+24:vgprG2LB+24+3] offset:24576 // lwoB_0_0_6_0 = (0*LSCB) + (6*LSPB)(*MT1J+PAD) = 24576
v_mfma_f64_16x16x4_f64 a[80+0:87+0], v[vgprValuB_X1_I0+12+0+0:vgprValuB_X1_I0+12+0+0+1], v[vgprValuA_X1_I0+4+0+0:vgprValuA_X1_I0+4+0+0+1], a[80:87]
 // Cr += Ar*Br
/*  mfmaIndex:173  */
_buffer_load_b128 v[vgprG2LB+24:vgprG2LB+24+3], v[vgprGlobalReadOffsetB+0], s[sgprSrdB:sgprSrdB+3], s[sgprScalarGlobalReadOffsetB+5], offen offset:0 // G -> Reg 0_0_6_0
v_mfma_f64_16x16x4_f64 a[176+0:183+0], v[vgprValuB_X1_I0+12+0+0:vgprValuB_X1_I0+12+0+0+1], v[vgprValuA_X1_I0+4+0+0+2:vgprValuA_X1_I0+4+0+0+2+1], a[176:183]
 // Ci += Ai*Br
/*  mfmaIndex:174  */
v_mfma_f64_16x16x4_f64 a[80+0:87+0], v[vgprValuB_X1_I0+12+0+0+2:vgprValuB_X1_I0+12+0+0+2+1], v[120:121], a[80:87]
 // Cr += -Ai*Bi
/*  mfmaIndex:175  */
v_mfma_f64_16x16x4_f64 a[176+0:183+0], v[vgprValuB_X1_I0+12+0+0+2:vgprValuB_X1_I0+12+0+0+2+1], v[vgprValuA_X1_I0+4+0+0:vgprValuA_X1_I0+4+0+0+1], a[176:183]
 // Ci += Ar*Bi
/*  mfmaIndex:176  */
v_add_f64 v[120:121], -v[vgprValuA_X1_I0+8+0+0+2:vgprValuA_X1_I0+8+0+0+2+1], 0 // Ai=-Ai
v_mfma_f64_16x16x4_f64 a[16+0:23+0], v[vgprValuB_X1_I0+0+0+0:vgprValuB_X1_I0+0+0+0+1], v[vgprValuA_X1_I0+8+0+0:vgprValuA_X1_I0+8+0+0+1], a[16:23]
 // Cr += Ar*Br
/*  mfmaIndex:177  */
/* sched write - iter 3 writesPerItem=1 */
s_waitcnt vmcnt(0)                                 // lgkmcnt=-1 vmcnt=0wait for global read before writing to local
_ds_store_b128 v[vgprLocalWriteAddrB], v[vgprG2LB+28:vgprG2LB+28+3] offset:28672 // lwoB_0_0_7_0 = (0*LSCB) + (7*LSPB)(*MT1J+PAD) = 28672
v_mfma_f64_16x16x4_f64 a[112+0:119+0], v[vgprValuB_X1_I0+0+0+0:vgprValuB_X1_I0+0+0+0+1], v[vgprValuA_X1_I0+8+0+0+2:vgprValuA_X1_I0+8+0+0+2+1], a[112:119]
 // Ci += Ai*Br
/*  mfmaIndex:178  */
_buffer_load_b128 v[vgprG2LB+28:vgprG2LB+28+3], v[vgprGlobalReadOffsetB+0], s[sgprSrdB:sgprSrdB+3], s[sgprScalarGlobalReadOffsetB+6], offen offset:0 // G -> Reg 0_0_7_0

/* local write swap offsets a */

/* local write swap offsets b */
v_mfma_f64_16x16x4_f64 a[16+0:23+0], v[vgprValuB_X1_I0+0+0+0+2:vgprValuB_X1_I0+0+0+0+2+1], v[120:121], a[16:23]
 // Cr += -Ai*Bi
/*  mfmaIndex:179  */
v_mfma_f64_16x16x4_f64 a[112+0:119+0], v[vgprValuB_X1_I0+0+0+0+2:vgprValuB_X1_I0+0+0+0+2+1], v[vgprValuA_X1_I0+8+0+0:vgprValuA_X1_I0+8+0+0+1], a[112:119]
 // Ci += Ar*Bi
s_setprio 0                                        // store optimization
/*  mfmaIndex:180  */
s_waitcnt lgkmcnt(0)                               // lgkmcnt=0 vmcnt=-13wait for local write
// Skip force waitcnt0
s_barrier //
v_mfma_f64_16x16x4_f64 a[40+0:47+0], v[vgprValuB_X1_I0+4+0+0:vgprValuB_X1_I0+4+0+0+1], v[vgprValuA_X1_I0+8+0+0:vgprValuA_X1_I0+8+0+0+1], a[40:47]
 // Cr += Ar*Br
/*  mfmaIndex:181  */
s_setprio 3                                        // store optimization
_ds_load_b128 v[vgprValuA_X0_I0+0:vgprValuA_X0_I0+0+3], v[vgprLocalReadAddrA] offset:0 // L -> Reg lro=0 swapByteOffset=0 ti=32 vIdx=0 rIdx=0 oIdx=0 buffer=0 iui=0
v_mfma_f64_16x16x4_f64 a[136+0:143+0], v[vgprValuB_X1_I0+4+0+0:vgprValuB_X1_I0+4+0+0+1], v[vgprValuA_X1_I0+8+0+0+2:vgprValuA_X1_I0+8+0+0+2+1], a[136:143]
 // Ci += Ai*Br
/*  mfmaIndex:182  */
_ds_load_b128 v[vgprValuB_X0_I0+0:vgprValuB_X0_I0+0+3], v[vgprLocalReadAddrB] offset:0 // L -> Reg lro=0 swapByteOffset=0 ti=32 vIdx=0 rIdx=0 oIdx=0 buffer=0 iui=0
v_mfma_f64_16x16x4_f64 a[40+0:47+0], v[vgprValuB_X1_I0+4+0+0+2:vgprValuB_X1_I0+4+0+0+2+1], v[120:121], a[40:47]
 // Cr += -Ai*Bi
/*  mfmaIndex:183  */
_ds_load_b128 v[vgprValuA_X0_I0+4:vgprValuA_X0_I0+4+3], v[vgprLocalReadAddrA] offset:9216 // L -> Reg lro=0 swapByteOffset=0 ti=32 vIdx=1 rIdx=0 oIdx=0 buffer=0 iui=0
v_mfma_f64_16x16x4_f64 a[136+0:143+0], v[vgprValuB_X1_I0+4+0+0+2:vgprValuB_X1_I0+4+0+0+2+1], v[vgprValuA_X1_I0+8+0+0:vgprValuA_X1_I0+8+0+0+1], a[136:143]
 // Ci += Ar*Bi
/*  mfmaIndex:184  */
_ds_load_b128 v[vgprValuA_X0_I0+8:vgprValuA_X0_I0+8+3], v[vgprLocalReadAddrA] offset:18432 // L -> Reg lro=0 swapByteOffset=0 ti=32 vIdx=2 rIdx=0 oIdx=0 buffer=0 iui=0
v_mfma_f64_16x16x4_f64 a[64+0:71+0], v[vgprValuB_X1_I0+8+0+0:vgprValuB_X1_I0+8+0+0+1], v[vgprValuA_X1_I0+8+0+0:vgprValuA_X1_I0+8+0+0+1], a[64:71]
 // Cr += Ar*Br
/*  mfmaIndex:185  */
_ds_load_b128 v[vgprValuB_X0_I0+4:vgprValuB_X0_I0+4+3], v[vgprLocalReadAddrB] offset:512 // L -> Reg lro=0 swapByteOffset=0 ti=32 vIdx=1 rIdx=0 oIdx=0 buffer=0 iui=0
v_mfma_f64_16x16x4_f64 a[160+0:167+0], v[vgprValuB_X1_I0+8+0+0:vgprValuB_X1_I0+8+0+0+1], v[vgprValuA_X1_I0+8+0+0+2:vgprValuA_X1_I0+8+0+0+2+1], a[160:167]
 // Ci += Ai*Br
/*  mfmaIndex:186  */
_ds_load_b128 v[vgprValuB_X0_I0+8:vgprValuB_X0_I0+8+3], v[vgprLocalReadAddrB] offset:1024 // L -> Reg lro=0 swapByteOffset=0 ti=32 vIdx=2 rIdx=0 oIdx=0 buffer=0 iui=0
v_mfma_f64_16x16x4_f64 a[64+0:71+0], v[vgprValuB_X1_I0+8+0+0+2:vgprValuB_X1_I0+8+0+0+2+1], v[120:121], a[64:71]
 // Cr += -Ai*Bi
/*  mfmaIndex:187  */
_ds_load_b128 v[vgprValuB_X0_I0+12:vgprValuB_X0_I0+12+3], v[vgprLocalReadAddrB] offset:1536 // L -> Reg lro=0 swapByteOffset=0 ti=32 vIdx=3 rIdx=0 oIdx=0 buffer=0 iui=0
v_mfma_f64_16x16x4_f64 a[160+0:167+0], v[vgprValuB_X1_I0+8+0+0+2:vgprValuB_X1_I0+8+0+0+2+1], v[vgprValuA_X1_I0+8+0+0:vgprValuA_X1_I0+8+0+0+1], a[160:167]
 // Ci += Ar*Bi
/*  mfmaIndex:188  */
v_mfma_f64_16x16x4_f64 a[88+0:95+0], v[vgprValuB_X1_I0+12+0+0:vgprValuB_X1_I0+12+0+0+1], v[vgprValuA_X1_I0+8+0+0:vgprValuA_X1_I0+8+0+0+1], a[88:95]
 // Cr += Ar*Br
/*  mfmaIndex:189  */
v_mfma_f64_16x16x4_f64 a[184+0:191+0], v[vgprValuB_X1_I0+12+0+0:vgprValuB_X1_I0+12+0+0+1], v[vgprValuA_X1_I0+8+0+0+2:vgprValuA_X1_I0+8+0+0+2+1], a[184:191]
 // Ci += Ai*Br
/*  mfmaIndex:190  */
v_mfma_f64_16x16x4_f64 a[88+0:95+0], v[vgprValuB_X1_I0+12+0+0+2:vgprValuB_X1_I0+12+0+0+2+1], v[120:121], a[88:95]
 // Cr += -Ai*Bi
/*  mfmaIndex:191  */
v_mfma_f64_16x16x4_f64 a[184+0:191+0], v[vgprValuB_X1_I0+12+0+0+2:vgprValuB_X1_I0+12+0+0+2+1], v[vgprValuA_X1_I0+8+0+0:vgprValuA_X1_I0+8+0+0+1], a[184:191]
 // Ci += Ar*Bi
s_setprio 0                                        // store optimization
/* numPrefetchIter=1 */
/* dataAtIterA=2 numReadsIterA=3 skipReadsIterA=1 readsPerIterA=3 */
/* dataAtIterB=2 numReadsIterB=3 skipReadsIterB=1 readsPerIterB=4 */


/******************************************/
/* Unrolled Loop - End 1/2                */
/******************************************/


/* closeLoop loopL finalLoop=0 tailLoop=0 */
s_sub_u32 s[sgprLoopCounterL], s[sgprLoopCounterL], 1 // dec counterL
s_cmp_eq_i32 s[sgprLoopCounterL], 0x2              // counterL==2
s_cbranch_scc1 LoopEndL_oddexit_3                  // exit LoopL


/******************************************/
/* Unrolled Loop 2/2 - Begin              */
/******************************************/

label_0016: // LoopCopy2 


/* Begin Each Unroll: Check VGPR.checkin for INT8 LW */


	;; [unrolled: 1-line block ×3, first 2 shown]
/* iter 0 */

/*  grEndMfmaIndex:6, lwStartMfmaIndex:109, lwEndMfmaIndex:178  */
/*  numMfmaForLR:11, barrierMfmaIndex:180, LocalWritePerMfma:0.190 */
/*  mfmaIndex:0  */
s_waitcnt lgkmcnt(0)                               // lgkmcnt=0 vmcnt=-1wait for prior local read local write old=0, new=0 newLW=0 newLR=0
v_add_f64 v[120:121], -v[vgprValuA_X0_I0+0+0+0+2:vgprValuA_X0_I0+0+0+0+2+1], 0 // Ai=-Ai
v_mfma_f64_16x16x4_f64 a[0+0:7+0], v[vgprValuB_X0_I0+0+0+0:vgprValuB_X0_I0+0+0+0+1], v[vgprValuA_X0_I0+0+0+0:vgprValuA_X0_I0+0+0+0+1], a[0:7]
 // Cr += Ar*Br
/*  mfmaIndex:1  */
_ds_load_b128 v[vgprValuA_X1_I0+0:vgprValuA_X1_I0+0+3], v[vgprLocalReadAddrA] offset:64 // L -> Reg lro=4 swapByteOffset=0 ti=32 vIdx=0 rIdx=0 oIdx=0 buffer=1 iui=0

/* global read inc A loopL */
s_cmp_eq_u32 s[sgprLoopCounterL], s[sgprStaggerUIter] // Is this the wrapIter?
s_cselect_b32 s76, s[sgprWrapUA+0], s[sgprGlobalReadIncsA+0] // incLower <- ?
s_cselect_b32 s77, s[sgprWrapUA+1], 0              // incUpper <- ?
v_mfma_f64_16x16x4_f64 a[96+0:103+0], v[vgprValuB_X0_I0+0+0+0:vgprValuB_X0_I0+0+0+0+1], v[vgprValuA_X0_I0+0+0+0+2:vgprValuA_X0_I0+0+0+0+2+1], a[96:103]
 // Ci += Ai*Br
/*  mfmaIndex:2  */
_ds_load_b128 v[vgprValuB_X1_I0+0:vgprValuB_X1_I0+0+3], v[vgprLocalReadAddrB] offset:8192 // L -> Reg lro=512 swapByteOffset=0 ti=32 vIdx=0 rIdx=0 oIdx=0 buffer=1 iui=0
s_add_u32 s[sgprSrdA+0], s[sgprSrdA+0], s76        // gra SRD += inc(lower)
s_addc_u32  s[sgprSrdA+1], s[sgprSrdA+1], s77      // gra SRD += inc(upper)
s_sub_u32 s[sgprShadowLimitA+0], s[sgprShadowLimitA+0], s76 // limit -= inc)
v_mfma_f64_16x16x4_f64 a[0+0:7+0], v[vgprValuB_X0_I0+0+0+0+2:vgprValuB_X0_I0+0+0+0+2+1], v[120:121], a[0:7]
 // Cr += -Ai*Bi
/*  mfmaIndex:3  */
_ds_load_b128 v[vgprValuA_X1_I0+4:vgprValuA_X1_I0+4+3], v[vgprLocalReadAddrA] offset:9280 // L -> Reg lro=4 swapByteOffset=0 ti=32 vIdx=1 rIdx=0 oIdx=0 buffer=1 iui=0
s_subb_u32 s[sgprShadowLimitA+1], s[sgprShadowLimitA+1], s77 // limit -= inc)
s_cmp_eq_u32 s[sgprShadowLimitA+1], 0              // are we within 2^32?
s_cselect_b32 s[sgprSrdA+2], s[sgprShadowLimitA+0], BufferLimitA // Move shadow to real if we are within 2^32
v_mfma_f64_16x16x4_f64 a[96+0:103+0], v[vgprValuB_X0_I0+0+0+0+2:vgprValuB_X0_I0+0+0+0+2+1], v[vgprValuA_X0_I0+0+0+0:vgprValuA_X0_I0+0+0+0+1], a[96:103]
 // Ci += Ar*Bi
/*  mfmaIndex:4  */
_ds_load_b128 v[vgprValuA_X1_I0+8:vgprValuA_X1_I0+8+3], v[vgprLocalReadAddrA] offset:18496 // L -> Reg lro=4 swapByteOffset=0 ti=32 vIdx=2 rIdx=0 oIdx=0 buffer=1 iui=0

/* global read inc B loopL */
s_cmp_eq_u32 s[sgprLoopCounterL], s[sgprStaggerUIter] // Is this the wrapIter?
s_cselect_b32 s76, s[sgprWrapUB+0], s[sgprGlobalReadIncsB+0] // incLower <- ?
s_cselect_b32 s77, s[sgprWrapUB+1], 0              // incUpper <- ?
v_mfma_f64_16x16x4_f64 a[24+0:31+0], v[vgprValuB_X0_I0+4+0+0:vgprValuB_X0_I0+4+0+0+1], v[vgprValuA_X0_I0+0+0+0:vgprValuA_X0_I0+0+0+0+1], a[24:31]
 // Cr += Ar*Br
/*  mfmaIndex:5  */
_ds_load_b128 v[vgprValuB_X1_I0+4:vgprValuB_X1_I0+4+3], v[vgprLocalReadAddrB] offset:8704 // L -> Reg lro=512 swapByteOffset=0 ti=32 vIdx=1 rIdx=0 oIdx=0 buffer=1 iui=0
s_add_u32 s[sgprSrdB+0], s[sgprSrdB+0], s76        // gra SRD += inc(lower)
s_addc_u32  s[sgprSrdB+1], s[sgprSrdB+1], s77      // gra SRD += inc(upper)
s_sub_u32 s[sgprShadowLimitB+0], s[sgprShadowLimitB+0], s76 // limit -= inc)
v_mfma_f64_16x16x4_f64 a[120+0:127+0], v[vgprValuB_X0_I0+4+0+0:vgprValuB_X0_I0+4+0+0+1], v[vgprValuA_X0_I0+0+0+0+2:vgprValuA_X0_I0+0+0+0+2+1], a[120:127]
 // Ci += Ai*Br
/*  mfmaIndex:6  */
_ds_load_b128 v[vgprValuB_X1_I0+8:vgprValuB_X1_I0+8+3], v[vgprLocalReadAddrB] offset:9216 // L -> Reg lro=512 swapByteOffset=0 ti=32 vIdx=2 rIdx=0 oIdx=0 buffer=1 iui=0
s_subb_u32 s[sgprShadowLimitB+1], s[sgprShadowLimitB+1], s77 // limit -= inc)
s_cmp_eq_u32 s[sgprShadowLimitB+1], 0              // are we within 2^32?
s_cselect_b32 s[sgprSrdB+2], s[sgprShadowLimitB+0], BufferLimitB // Move shadow to real if we are within 2^32
v_mfma_f64_16x16x4_f64 a[24+0:31+0], v[vgprValuB_X0_I0+4+0+0+2:vgprValuB_X0_I0+4+0+0+2+1], v[120:121], a[24:31]
 // Cr += -Ai*Bi
/*  mfmaIndex:7  */
_ds_load_b128 v[vgprValuB_X1_I0+12:vgprValuB_X1_I0+12+3], v[vgprLocalReadAddrB] offset:9728 // L -> Reg lro=512 swapByteOffset=0 ti=32 vIdx=3 rIdx=0 oIdx=0 buffer=1 iui=0
/* localReadsVacancy: latencyLeft 1 */
v_mfma_f64_16x16x4_f64 a[120+0:127+0], v[vgprValuB_X0_I0+4+0+0+2:vgprValuB_X0_I0+4+0+0+2+1], v[vgprValuA_X0_I0+0+0+0:vgprValuA_X0_I0+0+0+0+1], a[120:127]
 // Ci += Ar*Bi
/*  mfmaIndex:8  */
/* localReadsVacancy: latencyLeft 5 */
v_mfma_f64_16x16x4_f64 a[48+0:55+0], v[vgprValuB_X0_I0+8+0+0:vgprValuB_X0_I0+8+0+0+1], v[vgprValuA_X0_I0+0+0+0:vgprValuA_X0_I0+0+0+0+1], a[48:55]
 // Cr += Ar*Br
/*  mfmaIndex:9  */
/* localReadsVacancy: latencyLeft 5 */
v_mfma_f64_16x16x4_f64 a[144+0:151+0], v[vgprValuB_X0_I0+8+0+0:vgprValuB_X0_I0+8+0+0+1], v[vgprValuA_X0_I0+0+0+0+2:vgprValuA_X0_I0+0+0+0+2+1], a[144:151]
 // Ci += Ai*Br
/*  mfmaIndex:10  */
/* localReadsVacancy: latencyLeft 5 */
v_mfma_f64_16x16x4_f64 a[48+0:55+0], v[vgprValuB_X0_I0+8+0+0+2:vgprValuB_X0_I0+8+0+0+2+1], v[120:121], a[48:55]
 // Cr += -Ai*Bi
/*  mfmaIndex:11  */
/* localReadsVacancy: latencyLeft 5 */
v_mfma_f64_16x16x4_f64 a[144+0:151+0], v[vgprValuB_X0_I0+8+0+0+2:vgprValuB_X0_I0+8+0+0+2+1], v[vgprValuA_X0_I0+0+0+0:vgprValuA_X0_I0+0+0+0+1], a[144:151]
 // Ci += Ar*Bi
/*  mfmaIndex:12  */
/* localReadsVacancy: latencyLeft 5 */
v_mfma_f64_16x16x4_f64 a[72+0:79+0], v[vgprValuB_X0_I0+12+0+0:vgprValuB_X0_I0+12+0+0+1], v[vgprValuA_X0_I0+0+0+0:vgprValuA_X0_I0+0+0+0+1], a[72:79]
 // Cr += Ar*Br
/*  mfmaIndex:13  */
/* localReadsVacancy: latencyLeft 5 */
v_mfma_f64_16x16x4_f64 a[168+0:175+0], v[vgprValuB_X0_I0+12+0+0:vgprValuB_X0_I0+12+0+0+1], v[vgprValuA_X0_I0+0+0+0+2:vgprValuA_X0_I0+0+0+0+2+1], a[168:175]
 // Ci += Ai*Br
/*  mfmaIndex:14  */
/* localReadsVacancy: latencyLeft 5 */
v_mfma_f64_16x16x4_f64 a[72+0:79+0], v[vgprValuB_X0_I0+12+0+0+2:vgprValuB_X0_I0+12+0+0+2+1], v[120:121], a[72:79]
 // Cr += -Ai*Bi
/*  mfmaIndex:15  */
/* localReadsVacancy: latencyLeft 5 */
v_mfma_f64_16x16x4_f64 a[168+0:175+0], v[vgprValuB_X0_I0+12+0+0+2:vgprValuB_X0_I0+12+0+0+2+1], v[vgprValuA_X0_I0+0+0+0:vgprValuA_X0_I0+0+0+0+1], a[168:175]
 // Ci += Ar*Bi
/*  mfmaIndex:16  */
/* localReadsVacancy: latencyLeft 5 */
v_add_f64 v[120:121], -v[vgprValuA_X0_I0+4+0+0+2:vgprValuA_X0_I0+4+0+0+2+1], 0 // Ai=-Ai
v_mfma_f64_16x16x4_f64 a[8+0:15+0], v[vgprValuB_X0_I0+0+0+0:vgprValuB_X0_I0+0+0+0+1], v[vgprValuA_X0_I0+4+0+0:vgprValuA_X0_I0+4+0+0+1], a[8:15]
 // Cr += Ar*Br
/*  mfmaIndex:17  */
/* localReadsVacancy: latencyLeft 5 */
v_mfma_f64_16x16x4_f64 a[104+0:111+0], v[vgprValuB_X0_I0+0+0+0:vgprValuB_X0_I0+0+0+0+1], v[vgprValuA_X0_I0+4+0+0+2:vgprValuA_X0_I0+4+0+0+2+1], a[104:111]
 // Ci += Ai*Br
/*  mfmaIndex:18  */
/* localReadsVacancy: latencyLeft 5 */
v_mfma_f64_16x16x4_f64 a[8+0:15+0], v[vgprValuB_X0_I0+0+0+0+2:vgprValuB_X0_I0+0+0+0+2+1], v[120:121], a[8:15]
 // Cr += -Ai*Bi
/*  mfmaIndex:19  */
/* localReadsVacancy: latencyLeft 5 */
v_mfma_f64_16x16x4_f64 a[104+0:111+0], v[vgprValuB_X0_I0+0+0+0+2:vgprValuB_X0_I0+0+0+0+2+1], v[vgprValuA_X0_I0+4+0+0:vgprValuA_X0_I0+4+0+0+1], a[104:111]
 // Ci += Ar*Bi
/*  mfmaIndex:20  */
/* localReadsVacancy: latencyLeft 5 */
v_mfma_f64_16x16x4_f64 a[32+0:39+0], v[vgprValuB_X0_I0+4+0+0:vgprValuB_X0_I0+4+0+0+1], v[vgprValuA_X0_I0+4+0+0:vgprValuA_X0_I0+4+0+0+1], a[32:39]
 // Cr += Ar*Br
/*  mfmaIndex:21  */
/* localReadsVacancy: latencyLeft 5 */
v_mfma_f64_16x16x4_f64 a[128+0:135+0], v[vgprValuB_X0_I0+4+0+0:vgprValuB_X0_I0+4+0+0+1], v[vgprValuA_X0_I0+4+0+0+2:vgprValuA_X0_I0+4+0+0+2+1], a[128:135]
 // Ci += Ai*Br
/*  mfmaIndex:22  */
/* localReadsVacancy: latencyLeft 5 */
v_mfma_f64_16x16x4_f64 a[32+0:39+0], v[vgprValuB_X0_I0+4+0+0+2:vgprValuB_X0_I0+4+0+0+2+1], v[120:121], a[32:39]
 // Cr += -Ai*Bi
/*  mfmaIndex:23  */
/* localReadsVacancy: latencyLeft 5 */
v_mfma_f64_16x16x4_f64 a[128+0:135+0], v[vgprValuB_X0_I0+4+0+0+2:vgprValuB_X0_I0+4+0+0+2+1], v[vgprValuA_X0_I0+4+0+0:vgprValuA_X0_I0+4+0+0+1], a[128:135]
 // Ci += Ar*Bi
/*  mfmaIndex:24  */
/* localReadsVacancy: latencyLeft 5 */
	;; [unrolled: 16-line block ×4, first 2 shown]
v_add_f64 v[120:121], -v[vgprValuA_X0_I0+8+0+0+2:vgprValuA_X0_I0+8+0+0+2+1], 0 // Ai=-Ai
v_mfma_f64_16x16x4_f64 a[16+0:23+0], v[vgprValuB_X0_I0+0+0+0:vgprValuB_X0_I0+0+0+0+1], v[vgprValuA_X0_I0+8+0+0:vgprValuA_X0_I0+8+0+0+1], a[16:23]
 // Cr += Ar*Br
/*  mfmaIndex:33  */
/* localReadsVacancy: latencyLeft 5 */
v_mfma_f64_16x16x4_f64 a[112+0:119+0], v[vgprValuB_X0_I0+0+0+0:vgprValuB_X0_I0+0+0+0+1], v[vgprValuA_X0_I0+8+0+0+2:vgprValuA_X0_I0+8+0+0+2+1], a[112:119]
 // Ci += Ai*Br
/*  mfmaIndex:34  */
/* localReadsVacancy: latencyLeft 5 */
v_mfma_f64_16x16x4_f64 a[16+0:23+0], v[vgprValuB_X0_I0+0+0+0+2:vgprValuB_X0_I0+0+0+0+2+1], v[120:121], a[16:23]
 // Cr += -Ai*Bi
/*  mfmaIndex:35  */
/* localReadsVacancy: latencyLeft 5 */
v_mfma_f64_16x16x4_f64 a[112+0:119+0], v[vgprValuB_X0_I0+0+0+0+2:vgprValuB_X0_I0+0+0+0+2+1], v[vgprValuA_X0_I0+8+0+0:vgprValuA_X0_I0+8+0+0+1], a[112:119]
 // Ci += Ar*Bi
/*  mfmaIndex:36  */
/* localReadsVacancy: latencyLeft 5 */
v_mfma_f64_16x16x4_f64 a[40+0:47+0], v[vgprValuB_X0_I0+4+0+0:vgprValuB_X0_I0+4+0+0+1], v[vgprValuA_X0_I0+8+0+0:vgprValuA_X0_I0+8+0+0+1], a[40:47]
 // Cr += Ar*Br
/*  mfmaIndex:37  */
/* localReadsVacancy: latencyLeft 5 */
v_mfma_f64_16x16x4_f64 a[136+0:143+0], v[vgprValuB_X0_I0+4+0+0:vgprValuB_X0_I0+4+0+0+1], v[vgprValuA_X0_I0+8+0+0+2:vgprValuA_X0_I0+8+0+0+2+1], a[136:143]
 // Ci += Ai*Br
/*  mfmaIndex:38  */
/* localReadsVacancy: latencyLeft 5 */
v_mfma_f64_16x16x4_f64 a[40+0:47+0], v[vgprValuB_X0_I0+4+0+0+2:vgprValuB_X0_I0+4+0+0+2+1], v[120:121], a[40:47]
 // Cr += -Ai*Bi
/*  mfmaIndex:39  */
/* localReadsVacancy: latencyLeft 5 */
v_mfma_f64_16x16x4_f64 a[136+0:143+0], v[vgprValuB_X0_I0+4+0+0+2:vgprValuB_X0_I0+4+0+0+2+1], v[vgprValuA_X0_I0+8+0+0:vgprValuA_X0_I0+8+0+0+1], a[136:143]
 // Ci += Ar*Bi
/*  mfmaIndex:40  */
/* localReadsVacancy: latencyLeft 5 */
	;; [unrolled: 16-line block ×3, first 2 shown]
v_mfma_f64_16x16x4_f64 a[88+0:95+0], v[vgprValuB_X0_I0+12+0+0:vgprValuB_X0_I0+12+0+0+1], v[vgprValuA_X0_I0+8+0+0:vgprValuA_X0_I0+8+0+0+1], a[88:95]
 // Cr += Ar*Br
/*  mfmaIndex:45  */
/* localReadsVacancy: latencyLeft 5 */
v_mfma_f64_16x16x4_f64 a[184+0:191+0], v[vgprValuB_X0_I0+12+0+0:vgprValuB_X0_I0+12+0+0+1], v[vgprValuA_X0_I0+8+0+0+2:vgprValuA_X0_I0+8+0+0+2+1], a[184:191]
 // Ci += Ai*Br
/*  mfmaIndex:46  */
/* localReadsVacancy: latencyLeft 5 */
v_mfma_f64_16x16x4_f64 a[88+0:95+0], v[vgprValuB_X0_I0+12+0+0+2:vgprValuB_X0_I0+12+0+0+2+1], v[120:121], a[88:95]
 // Cr += -Ai*Bi
/*  mfmaIndex:47  */
/* localReadsVacancy: latencyLeft 5 */
v_mfma_f64_16x16x4_f64 a[184+0:191+0], v[vgprValuB_X0_I0+12+0+0+2:vgprValuB_X0_I0+12+0+0+2+1], v[vgprValuA_X0_I0+8+0+0:vgprValuA_X0_I0+8+0+0+1], a[184:191]
 // Ci += Ar*Bi
/* numPrefetchIter=0 */
/* dataAtIterA=-1 numReadsIterA=1 skipReadsIterA=1 readsPerIterA=3 */
/* dataAtIterB=-1 numReadsIterB=1 skipReadsIterB=1 readsPerIterB=4 */


/* iter 1 */

/*  grEndMfmaIndex:6, lwStartMfmaIndex:109, lwEndMfmaIndex:178  */
/*  numMfmaForLR:11, barrierMfmaIndex:180, LocalWritePerMfma:0.190 */
/*  mfmaIndex:48  */
_ds_load_b128 v[vgprValuA_X0_I0+0:vgprValuA_X0_I0+0+3], v[vgprLocalReadAddrA] offset:128 // L -> Reg lro=8 swapByteOffset=0 ti=32 vIdx=0 rIdx=0 oIdx=0 buffer=0 iui=0
s_waitcnt lgkmcnt(1)                               // lgkmcnt=0 vmcnt=-1wait for prior local read local write old=0, new=1 newLW=0 newLR=1
v_add_f64 v[120:121], -v[vgprValuA_X1_I0+0+0+0+2:vgprValuA_X1_I0+0+0+0+2+1], 0 // Ai=-Ai
v_mfma_f64_16x16x4_f64 a[0+0:7+0], v[vgprValuB_X1_I0+0+0+0:vgprValuB_X1_I0+0+0+0+1], v[vgprValuA_X1_I0+0+0+0:vgprValuA_X1_I0+0+0+0+1], a[0:7]
 // Cr += Ar*Br
/*  mfmaIndex:49  */
_ds_load_b128 v[vgprValuB_X0_I0+0:vgprValuB_X0_I0+0+3], v[vgprLocalReadAddrB] offset:16384 // L -> Reg lro=1024 swapByteOffset=0 ti=32 vIdx=0 rIdx=0 oIdx=0 buffer=0 iui=0
v_mfma_f64_16x16x4_f64 a[96+0:103+0], v[vgprValuB_X1_I0+0+0+0:vgprValuB_X1_I0+0+0+0+1], v[vgprValuA_X1_I0+0+0+0+2:vgprValuA_X1_I0+0+0+0+2+1], a[96:103]
 // Ci += Ai*Br
/*  mfmaIndex:50  */
_ds_load_b128 v[vgprValuA_X0_I0+4:vgprValuA_X0_I0+4+3], v[vgprLocalReadAddrA] offset:9344 // L -> Reg lro=8 swapByteOffset=0 ti=32 vIdx=1 rIdx=0 oIdx=0 buffer=0 iui=0
v_mfma_f64_16x16x4_f64 a[0+0:7+0], v[vgprValuB_X1_I0+0+0+0+2:vgprValuB_X1_I0+0+0+0+2+1], v[120:121], a[0:7]
 // Cr += -Ai*Bi
/*  mfmaIndex:51  */
_ds_load_b128 v[vgprValuA_X0_I0+8:vgprValuA_X0_I0+8+3], v[vgprLocalReadAddrA] offset:18560 // L -> Reg lro=8 swapByteOffset=0 ti=32 vIdx=2 rIdx=0 oIdx=0 buffer=0 iui=0
v_mfma_f64_16x16x4_f64 a[96+0:103+0], v[vgprValuB_X1_I0+0+0+0+2:vgprValuB_X1_I0+0+0+0+2+1], v[vgprValuA_X1_I0+0+0+0:vgprValuA_X1_I0+0+0+0+1], a[96:103]
 // Ci += Ar*Bi
/*  mfmaIndex:52  */
_ds_load_b128 v[vgprValuB_X0_I0+4:vgprValuB_X0_I0+4+3], v[vgprLocalReadAddrB] offset:16896 // L -> Reg lro=1024 swapByteOffset=0 ti=32 vIdx=1 rIdx=0 oIdx=0 buffer=0 iui=0
v_mfma_f64_16x16x4_f64 a[24+0:31+0], v[vgprValuB_X1_I0+4+0+0:vgprValuB_X1_I0+4+0+0+1], v[vgprValuA_X1_I0+0+0+0:vgprValuA_X1_I0+0+0+0+1], a[24:31]
 // Cr += Ar*Br
/*  mfmaIndex:53  */
_ds_load_b128 v[vgprValuB_X0_I0+8:vgprValuB_X0_I0+8+3], v[vgprLocalReadAddrB] offset:17408 // L -> Reg lro=1024 swapByteOffset=0 ti=32 vIdx=2 rIdx=0 oIdx=0 buffer=0 iui=0
v_mfma_f64_16x16x4_f64 a[120+0:127+0], v[vgprValuB_X1_I0+4+0+0:vgprValuB_X1_I0+4+0+0+1], v[vgprValuA_X1_I0+0+0+0+2:vgprValuA_X1_I0+0+0+0+2+1], a[120:127]
 // Ci += Ai*Br
/*  mfmaIndex:54  */
_ds_load_b128 v[vgprValuB_X0_I0+12:vgprValuB_X0_I0+12+3], v[vgprLocalReadAddrB] offset:17920 // L -> Reg lro=1024 swapByteOffset=0 ti=32 vIdx=3 rIdx=0 oIdx=0 buffer=0 iui=0
/* localReadsVacancy: latencyLeft 1 */
v_mfma_f64_16x16x4_f64 a[24+0:31+0], v[vgprValuB_X1_I0+4+0+0+2:vgprValuB_X1_I0+4+0+0+2+1], v[120:121], a[24:31]
 // Cr += -Ai*Bi
/*  mfmaIndex:55  */
/* localReadsVacancy: latencyLeft 5 */
v_mfma_f64_16x16x4_f64 a[120+0:127+0], v[vgprValuB_X1_I0+4+0+0+2:vgprValuB_X1_I0+4+0+0+2+1], v[vgprValuA_X1_I0+0+0+0:vgprValuA_X1_I0+0+0+0+1], a[120:127]
 // Ci += Ar*Bi
/*  mfmaIndex:56  */
/* localReadsVacancy: latencyLeft 5 */
v_mfma_f64_16x16x4_f64 a[48+0:55+0], v[vgprValuB_X1_I0+8+0+0:vgprValuB_X1_I0+8+0+0+1], v[vgprValuA_X1_I0+0+0+0:vgprValuA_X1_I0+0+0+0+1], a[48:55]
 // Cr += Ar*Br
/*  mfmaIndex:57  */
/* localReadsVacancy: latencyLeft 5 */
v_mfma_f64_16x16x4_f64 a[144+0:151+0], v[vgprValuB_X1_I0+8+0+0:vgprValuB_X1_I0+8+0+0+1], v[vgprValuA_X1_I0+0+0+0+2:vgprValuA_X1_I0+0+0+0+2+1], a[144:151]
 // Ci += Ai*Br
/*  mfmaIndex:58  */
/* localReadsVacancy: latencyLeft 5 */
v_mfma_f64_16x16x4_f64 a[48+0:55+0], v[vgprValuB_X1_I0+8+0+0+2:vgprValuB_X1_I0+8+0+0+2+1], v[120:121], a[48:55]
 // Cr += -Ai*Bi
/*  mfmaIndex:59  */
/* localReadsVacancy: latencyLeft 5 */
v_mfma_f64_16x16x4_f64 a[144+0:151+0], v[vgprValuB_X1_I0+8+0+0+2:vgprValuB_X1_I0+8+0+0+2+1], v[vgprValuA_X1_I0+0+0+0:vgprValuA_X1_I0+0+0+0+1], a[144:151]
 // Ci += Ar*Bi
/*  mfmaIndex:60  */
/* localReadsVacancy: latencyLeft 5 */
v_mfma_f64_16x16x4_f64 a[72+0:79+0], v[vgprValuB_X1_I0+12+0+0:vgprValuB_X1_I0+12+0+0+1], v[vgprValuA_X1_I0+0+0+0:vgprValuA_X1_I0+0+0+0+1], a[72:79]
 // Cr += Ar*Br
/*  mfmaIndex:61  */
/* localReadsVacancy: latencyLeft 5 */
v_mfma_f64_16x16x4_f64 a[168+0:175+0], v[vgprValuB_X1_I0+12+0+0:vgprValuB_X1_I0+12+0+0+1], v[vgprValuA_X1_I0+0+0+0+2:vgprValuA_X1_I0+0+0+0+2+1], a[168:175]
 // Ci += Ai*Br
/*  mfmaIndex:62  */
/* localReadsVacancy: latencyLeft 5 */
v_mfma_f64_16x16x4_f64 a[72+0:79+0], v[vgprValuB_X1_I0+12+0+0+2:vgprValuB_X1_I0+12+0+0+2+1], v[120:121], a[72:79]
 // Cr += -Ai*Bi
/*  mfmaIndex:63  */
/* localReadsVacancy: latencyLeft 5 */
v_mfma_f64_16x16x4_f64 a[168+0:175+0], v[vgprValuB_X1_I0+12+0+0+2:vgprValuB_X1_I0+12+0+0+2+1], v[vgprValuA_X1_I0+0+0+0:vgprValuA_X1_I0+0+0+0+1], a[168:175]
 // Ci += Ar*Bi
/*  mfmaIndex:64  */
/* localReadsVacancy: latencyLeft 5 */
v_add_f64 v[120:121], -v[vgprValuA_X1_I0+4+0+0+2:vgprValuA_X1_I0+4+0+0+2+1], 0 // Ai=-Ai
v_mfma_f64_16x16x4_f64 a[8+0:15+0], v[vgprValuB_X1_I0+0+0+0:vgprValuB_X1_I0+0+0+0+1], v[vgprValuA_X1_I0+4+0+0:vgprValuA_X1_I0+4+0+0+1], a[8:15]
 // Cr += Ar*Br
/*  mfmaIndex:65  */
/* localReadsVacancy: latencyLeft 5 */
v_mfma_f64_16x16x4_f64 a[104+0:111+0], v[vgprValuB_X1_I0+0+0+0:vgprValuB_X1_I0+0+0+0+1], v[vgprValuA_X1_I0+4+0+0+2:vgprValuA_X1_I0+4+0+0+2+1], a[104:111]
 // Ci += Ai*Br
/*  mfmaIndex:66  */
/* localReadsVacancy: latencyLeft 5 */
v_mfma_f64_16x16x4_f64 a[8+0:15+0], v[vgprValuB_X1_I0+0+0+0+2:vgprValuB_X1_I0+0+0+0+2+1], v[120:121], a[8:15]
 // Cr += -Ai*Bi
/*  mfmaIndex:67  */
/* localReadsVacancy: latencyLeft 5 */
v_mfma_f64_16x16x4_f64 a[104+0:111+0], v[vgprValuB_X1_I0+0+0+0+2:vgprValuB_X1_I0+0+0+0+2+1], v[vgprValuA_X1_I0+4+0+0:vgprValuA_X1_I0+4+0+0+1], a[104:111]
 // Ci += Ar*Bi
/*  mfmaIndex:68  */
/* localReadsVacancy: latencyLeft 5 */
v_mfma_f64_16x16x4_f64 a[32+0:39+0], v[vgprValuB_X1_I0+4+0+0:vgprValuB_X1_I0+4+0+0+1], v[vgprValuA_X1_I0+4+0+0:vgprValuA_X1_I0+4+0+0+1], a[32:39]
 // Cr += Ar*Br
/*  mfmaIndex:69  */
/* localReadsVacancy: latencyLeft 5 */
v_mfma_f64_16x16x4_f64 a[128+0:135+0], v[vgprValuB_X1_I0+4+0+0:vgprValuB_X1_I0+4+0+0+1], v[vgprValuA_X1_I0+4+0+0+2:vgprValuA_X1_I0+4+0+0+2+1], a[128:135]
 // Ci += Ai*Br
/*  mfmaIndex:70  */
/* localReadsVacancy: latencyLeft 5 */
v_mfma_f64_16x16x4_f64 a[32+0:39+0], v[vgprValuB_X1_I0+4+0+0+2:vgprValuB_X1_I0+4+0+0+2+1], v[120:121], a[32:39]
 // Cr += -Ai*Bi
/*  mfmaIndex:71  */
/* localReadsVacancy: latencyLeft 5 */
v_mfma_f64_16x16x4_f64 a[128+0:135+0], v[vgprValuB_X1_I0+4+0+0+2:vgprValuB_X1_I0+4+0+0+2+1], v[vgprValuA_X1_I0+4+0+0:vgprValuA_X1_I0+4+0+0+1], a[128:135]
 // Ci += Ar*Bi
/*  mfmaIndex:72  */
/* localReadsVacancy: latencyLeft 5 */
	;; [unrolled: 16-line block ×4, first 2 shown]
v_add_f64 v[120:121], -v[vgprValuA_X1_I0+8+0+0+2:vgprValuA_X1_I0+8+0+0+2+1], 0 // Ai=-Ai
v_mfma_f64_16x16x4_f64 a[16+0:23+0], v[vgprValuB_X1_I0+0+0+0:vgprValuB_X1_I0+0+0+0+1], v[vgprValuA_X1_I0+8+0+0:vgprValuA_X1_I0+8+0+0+1], a[16:23]
 // Cr += Ar*Br
/*  mfmaIndex:81  */
/* localReadsVacancy: latencyLeft 5 */
v_mfma_f64_16x16x4_f64 a[112+0:119+0], v[vgprValuB_X1_I0+0+0+0:vgprValuB_X1_I0+0+0+0+1], v[vgprValuA_X1_I0+8+0+0+2:vgprValuA_X1_I0+8+0+0+2+1], a[112:119]
 // Ci += Ai*Br
/*  mfmaIndex:82  */
/* localReadsVacancy: latencyLeft 5 */
v_mfma_f64_16x16x4_f64 a[16+0:23+0], v[vgprValuB_X1_I0+0+0+0+2:vgprValuB_X1_I0+0+0+0+2+1], v[120:121], a[16:23]
 // Cr += -Ai*Bi
/*  mfmaIndex:83  */
/* localReadsVacancy: latencyLeft 5 */
v_mfma_f64_16x16x4_f64 a[112+0:119+0], v[vgprValuB_X1_I0+0+0+0+2:vgprValuB_X1_I0+0+0+0+2+1], v[vgprValuA_X1_I0+8+0+0:vgprValuA_X1_I0+8+0+0+1], a[112:119]
 // Ci += Ar*Bi
/*  mfmaIndex:84  */
/* localReadsVacancy: latencyLeft 5 */
v_mfma_f64_16x16x4_f64 a[40+0:47+0], v[vgprValuB_X1_I0+4+0+0:vgprValuB_X1_I0+4+0+0+1], v[vgprValuA_X1_I0+8+0+0:vgprValuA_X1_I0+8+0+0+1], a[40:47]
 // Cr += Ar*Br
/*  mfmaIndex:85  */
/* localReadsVacancy: latencyLeft 5 */
v_mfma_f64_16x16x4_f64 a[136+0:143+0], v[vgprValuB_X1_I0+4+0+0:vgprValuB_X1_I0+4+0+0+1], v[vgprValuA_X1_I0+8+0+0+2:vgprValuA_X1_I0+8+0+0+2+1], a[136:143]
 // Ci += Ai*Br
/*  mfmaIndex:86  */
/* localReadsVacancy: latencyLeft 5 */
v_mfma_f64_16x16x4_f64 a[40+0:47+0], v[vgprValuB_X1_I0+4+0+0+2:vgprValuB_X1_I0+4+0+0+2+1], v[120:121], a[40:47]
 // Cr += -Ai*Bi
/*  mfmaIndex:87  */
/* localReadsVacancy: latencyLeft 5 */
v_mfma_f64_16x16x4_f64 a[136+0:143+0], v[vgprValuB_X1_I0+4+0+0+2:vgprValuB_X1_I0+4+0+0+2+1], v[vgprValuA_X1_I0+8+0+0:vgprValuA_X1_I0+8+0+0+1], a[136:143]
 // Ci += Ar*Bi
/*  mfmaIndex:88  */
/* localReadsVacancy: latencyLeft 5 */
	;; [unrolled: 16-line block ×3, first 2 shown]
v_mfma_f64_16x16x4_f64 a[88+0:95+0], v[vgprValuB_X1_I0+12+0+0:vgprValuB_X1_I0+12+0+0+1], v[vgprValuA_X1_I0+8+0+0:vgprValuA_X1_I0+8+0+0+1], a[88:95]
 // Cr += Ar*Br
/*  mfmaIndex:93  */
/* localReadsVacancy: latencyLeft 5 */
v_mfma_f64_16x16x4_f64 a[184+0:191+0], v[vgprValuB_X1_I0+12+0+0:vgprValuB_X1_I0+12+0+0+1], v[vgprValuA_X1_I0+8+0+0+2:vgprValuA_X1_I0+8+0+0+2+1], a[184:191]
 // Ci += Ai*Br
/*  mfmaIndex:94  */
/* localReadsVacancy: latencyLeft 5 */
v_mfma_f64_16x16x4_f64 a[88+0:95+0], v[vgprValuB_X1_I0+12+0+0+2:vgprValuB_X1_I0+12+0+0+2+1], v[120:121], a[88:95]
 // Cr += -Ai*Bi
/*  mfmaIndex:95  */
/* localReadsVacancy: latencyLeft 5 */
v_mfma_f64_16x16x4_f64 a[184+0:191+0], v[vgprValuB_X1_I0+12+0+0+2:vgprValuB_X1_I0+12+0+0+2+1], v[vgprValuA_X1_I0+8+0+0:vgprValuA_X1_I0+8+0+0+1], a[184:191]
 // Ci += Ar*Bi
/* numPrefetchIter=0 */
/* dataAtIterA=0 numReadsIterA=2 skipReadsIterA=1 readsPerIterA=3 */
/* dataAtIterB=0 numReadsIterB=2 skipReadsIterB=1 readsPerIterB=4 */


/* iter 2 (reset local read pointers iteration)  (swap local read pointers iteration)  */

/*  grEndMfmaIndex:6, lwStartMfmaIndex:109, lwEndMfmaIndex:178  */
/*  numMfmaForLR:11, barrierMfmaIndex:180, LocalWritePerMfma:0.190 */
/*  mfmaIndex:96  */
_ds_load_b128 v[vgprValuA_X1_I0+0:vgprValuA_X1_I0+0+3], v[vgprLocalReadAddrA] offset:192 // L -> Reg lro=12 swapByteOffset=0 ti=32 vIdx=0 rIdx=0 oIdx=0 buffer=1 iui=0
s_waitcnt lgkmcnt(1)                               // lgkmcnt=0 vmcnt=-1wait for prior local read local write old=0, new=1 newLW=0 newLR=1
v_add_f64 v[120:121], -v[vgprValuA_X0_I0+0+0+0+2:vgprValuA_X0_I0+0+0+0+2+1], 0 // Ai=-Ai
v_mfma_f64_16x16x4_f64 a[0+0:7+0], v[vgprValuB_X0_I0+0+0+0:vgprValuB_X0_I0+0+0+0+1], v[vgprValuA_X0_I0+0+0+0:vgprValuA_X0_I0+0+0+0+1], a[0:7]
 // Cr += Ar*Br
/*  mfmaIndex:97  */
_ds_load_b128 v[vgprValuB_X1_I0+0:vgprValuB_X1_I0+0+3], v[vgprLocalReadAddrB] offset:24576 // L -> Reg lro=1536 swapByteOffset=0 ti=32 vIdx=0 rIdx=0 oIdx=0 buffer=1 iui=0
v_mfma_f64_16x16x4_f64 a[96+0:103+0], v[vgprValuB_X0_I0+0+0+0:vgprValuB_X0_I0+0+0+0+1], v[vgprValuA_X0_I0+0+0+0+2:vgprValuA_X0_I0+0+0+0+2+1], a[96:103]
 // Ci += Ai*Br
/*  mfmaIndex:98  */
_ds_load_b128 v[vgprValuA_X1_I0+4:vgprValuA_X1_I0+4+3], v[vgprLocalReadAddrA] offset:9408 // L -> Reg lro=12 swapByteOffset=0 ti=32 vIdx=1 rIdx=0 oIdx=0 buffer=1 iui=0
v_mfma_f64_16x16x4_f64 a[0+0:7+0], v[vgprValuB_X0_I0+0+0+0+2:vgprValuB_X0_I0+0+0+0+2+1], v[120:121], a[0:7]
 // Cr += -Ai*Bi
/*  mfmaIndex:99  */
_ds_load_b128 v[vgprValuA_X1_I0+8:vgprValuA_X1_I0+8+3], v[vgprLocalReadAddrA] offset:18624 // L -> Reg lro=12 swapByteOffset=0 ti=32 vIdx=2 rIdx=0 oIdx=0 buffer=1 iui=0
v_mfma_f64_16x16x4_f64 a[96+0:103+0], v[vgprValuB_X0_I0+0+0+0+2:vgprValuB_X0_I0+0+0+0+2+1], v[vgprValuA_X0_I0+0+0+0:vgprValuA_X0_I0+0+0+0+1], a[96:103]
 // Ci += Ar*Bi
/*  mfmaIndex:100  */
_ds_load_b128 v[vgprValuB_X1_I0+4:vgprValuB_X1_I0+4+3], v[vgprLocalReadAddrB] offset:25088 // L -> Reg lro=1536 swapByteOffset=0 ti=32 vIdx=1 rIdx=0 oIdx=0 buffer=1 iui=0
v_mfma_f64_16x16x4_f64 a[24+0:31+0], v[vgprValuB_X0_I0+4+0+0:vgprValuB_X0_I0+4+0+0+1], v[vgprValuA_X0_I0+0+0+0:vgprValuA_X0_I0+0+0+0+1], a[24:31]
 // Cr += Ar*Br
/*  mfmaIndex:101  */
_ds_load_b128 v[vgprValuB_X1_I0+8:vgprValuB_X1_I0+8+3], v[vgprLocalReadAddrB] offset:25600 // L -> Reg lro=1536 swapByteOffset=0 ti=32 vIdx=2 rIdx=0 oIdx=0 buffer=1 iui=0
v_mfma_f64_16x16x4_f64 a[120+0:127+0], v[vgprValuB_X0_I0+4+0+0:vgprValuB_X0_I0+4+0+0+1], v[vgprValuA_X0_I0+0+0+0+2:vgprValuA_X0_I0+0+0+0+2+1], a[120:127]
 // Ci += Ai*Br
/*  mfmaIndex:102  */
_ds_load_b128 v[vgprValuB_X1_I0+12:vgprValuB_X1_I0+12+3], v[vgprLocalReadAddrB] offset:26112 // L -> Reg lro=1536 swapByteOffset=0 ti=32 vIdx=3 rIdx=0 oIdx=0 buffer=1 iui=0
/* localReadsVacancy: latencyLeft 1 */
v_mfma_f64_16x16x4_f64 a[24+0:31+0], v[vgprValuB_X0_I0+4+0+0+2:vgprValuB_X0_I0+4+0+0+2+1], v[120:121], a[24:31]
 // Cr += -Ai*Bi
/*  mfmaIndex:103  */
/* localReadsVacancy: latencyLeft 5 */
v_mfma_f64_16x16x4_f64 a[120+0:127+0], v[vgprValuB_X0_I0+4+0+0+2:vgprValuB_X0_I0+4+0+0+2+1], v[vgprValuA_X0_I0+0+0+0:vgprValuA_X0_I0+0+0+0+1], a[120:127]
 // Ci += Ar*Bi
/*  mfmaIndex:104  */
/* localReadsVacancy: latencyLeft 5 */
v_mfma_f64_16x16x4_f64 a[48+0:55+0], v[vgprValuB_X0_I0+8+0+0:vgprValuB_X0_I0+8+0+0+1], v[vgprValuA_X0_I0+0+0+0:vgprValuA_X0_I0+0+0+0+1], a[48:55]
 // Cr += Ar*Br
/*  mfmaIndex:105  */
/* localReadsVacancy: latencyLeft 5 */
v_mfma_f64_16x16x4_f64 a[144+0:151+0], v[vgprValuB_X0_I0+8+0+0:vgprValuB_X0_I0+8+0+0+1], v[vgprValuA_X0_I0+0+0+0+2:vgprValuA_X0_I0+0+0+0+2+1], a[144:151]
 // Ci += Ai*Br
/*  mfmaIndex:106  */
/* localReadsVacancy: latencyLeft 5 */
v_mfma_f64_16x16x4_f64 a[48+0:55+0], v[vgprValuB_X0_I0+8+0+0+2:vgprValuB_X0_I0+8+0+0+2+1], v[120:121], a[48:55]
 // Cr += -Ai*Bi
/*  mfmaIndex:107  */
/* localReadsVacancy: latencyLeft 5 */
v_mfma_f64_16x16x4_f64 a[144+0:151+0], v[vgprValuB_X0_I0+8+0+0+2:vgprValuB_X0_I0+8+0+0+2+1], v[vgprValuA_X0_I0+0+0+0:vgprValuA_X0_I0+0+0+0+1], a[144:151]
 // Ci += Ar*Bi
/*  mfmaIndex:108  */
/* localReadsVacancy: latencyLeft 5 */
/* 1 LDS buffer: read-sync-write */
s_waitcnt lgkmcnt(0)                               // 
s_barrier                                          // 
v_mfma_f64_16x16x4_f64 a[72+0:79+0], v[vgprValuB_X0_I0+12+0+0:vgprValuB_X0_I0+12+0+0+1], v[vgprValuA_X0_I0+0+0+0:vgprValuA_X0_I0+0+0+0+1], a[72:79]
 // Cr += Ar*Br
/*  mfmaIndex:109  */
s_setprio 3                                        // store optimization
/* sched write - iter 2 writesPerItem=1 */
s_waitcnt vmcnt(0)                                 // lgkmcnt=-1 vmcnt=0wait for global read before writing to local
_ds_store_b128 v[vgprLocalWriteAddrA], v[vgprG2LA+0:vgprG2LA+0+3] offset:0 // lwoA_0_0_0_0 = (0*LSCA)*(MT0I+PAD) + (0*LSPA) = 0
v_mfma_f64_16x16x4_f64 a[168+0:175+0], v[vgprValuB_X0_I0+12+0+0:vgprValuB_X0_I0+12+0+0+1], v[vgprValuA_X0_I0+0+0+0+2:vgprValuA_X0_I0+0+0+0+2+1], a[168:175]
 // Ci += Ai*Br
/*  mfmaIndex:110  */
_buffer_load_b128 v[vgprG2LA+0:vgprG2LA+0+3], v[vgprGlobalReadOffsetA+0], s[sgprSrdA:sgprSrdA+3], 0, offen offset:0 // G -> Reg 0_0_0_0
v_mfma_f64_16x16x4_f64 a[72+0:79+0], v[vgprValuB_X0_I0+12+0+0+2:vgprValuB_X0_I0+12+0+0+2+1], v[120:121], a[72:79]
 // Cr += -Ai*Bi
/*  mfmaIndex:111  */
v_mfma_f64_16x16x4_f64 a[168+0:175+0], v[vgprValuB_X0_I0+12+0+0+2:vgprValuB_X0_I0+12+0+0+2+1], v[vgprValuA_X0_I0+0+0+0:vgprValuA_X0_I0+0+0+0+1], a[168:175]
 // Ci += Ar*Bi
/*  mfmaIndex:112  */
v_add_f64 v[120:121], -v[vgprValuA_X0_I0+4+0+0+2:vgprValuA_X0_I0+4+0+0+2+1], 0 // Ai=-Ai
v_mfma_f64_16x16x4_f64 a[8+0:15+0], v[vgprValuB_X0_I0+0+0+0:vgprValuB_X0_I0+0+0+0+1], v[vgprValuA_X0_I0+4+0+0:vgprValuA_X0_I0+4+0+0+1], a[8:15]
 // Cr += Ar*Br
/*  mfmaIndex:113  */
v_mfma_f64_16x16x4_f64 a[104+0:111+0], v[vgprValuB_X0_I0+0+0+0:vgprValuB_X0_I0+0+0+0+1], v[vgprValuA_X0_I0+4+0+0+2:vgprValuA_X0_I0+4+0+0+2+1], a[104:111]
 // Ci += Ai*Br
/*  mfmaIndex:114  */
/* sched write - iter 2 writesPerItem=1 */
s_waitcnt vmcnt(0)                                 // lgkmcnt=-1 vmcnt=0wait for global read before writing to local
_ds_store_b128 v[vgprLocalWriteAddrA], v[vgprG2LA+4:vgprG2LA+4+3] offset:4608 // lwoA_0_0_1_0 = (0*LSCA)*(MT0I+PAD) + (1*LSPA) = 4608
v_mfma_f64_16x16x4_f64 a[8+0:15+0], v[vgprValuB_X0_I0+0+0+0+2:vgprValuB_X0_I0+0+0+0+2+1], v[120:121], a[8:15]
 // Cr += -Ai*Bi
/*  mfmaIndex:115  */
_buffer_load_b128 v[vgprG2LA+4:vgprG2LA+4+3], v[vgprGlobalReadOffsetA+0], s[sgprSrdA:sgprSrdA+3], s[sgprScalarGlobalReadOffsetA+0], offen offset:0 // G -> Reg 0_0_1_0
v_mfma_f64_16x16x4_f64 a[104+0:111+0], v[vgprValuB_X0_I0+0+0+0+2:vgprValuB_X0_I0+0+0+0+2+1], v[vgprValuA_X0_I0+4+0+0:vgprValuA_X0_I0+4+0+0+1], a[104:111]
 // Ci += Ar*Bi
/*  mfmaIndex:116  */
v_mfma_f64_16x16x4_f64 a[32+0:39+0], v[vgprValuB_X0_I0+4+0+0:vgprValuB_X0_I0+4+0+0+1], v[vgprValuA_X0_I0+4+0+0:vgprValuA_X0_I0+4+0+0+1], a[32:39]
 // Cr += Ar*Br
/*  mfmaIndex:117  */
v_mfma_f64_16x16x4_f64 a[128+0:135+0], v[vgprValuB_X0_I0+4+0+0:vgprValuB_X0_I0+4+0+0+1], v[vgprValuA_X0_I0+4+0+0+2:vgprValuA_X0_I0+4+0+0+2+1], a[128:135]
 // Ci += Ai*Br
/*  mfmaIndex:118  */
v_mfma_f64_16x16x4_f64 a[32+0:39+0], v[vgprValuB_X0_I0+4+0+0+2:vgprValuB_X0_I0+4+0+0+2+1], v[120:121], a[32:39]
 // Cr += -Ai*Bi
/*  mfmaIndex:119  */
/* sched write - iter 2 writesPerItem=1 */
s_waitcnt vmcnt(0)                                 // lgkmcnt=-1 vmcnt=0wait for global read before writing to local
_ds_store_b128 v[vgprLocalWriteAddrA], v[vgprG2LA+8:vgprG2LA+8+3] offset:9216 // lwoA_0_0_2_0 = (0*LSCA)*(MT0I+PAD) + (2*LSPA) = 9216
v_mfma_f64_16x16x4_f64 a[128+0:135+0], v[vgprValuB_X0_I0+4+0+0+2:vgprValuB_X0_I0+4+0+0+2+1], v[vgprValuA_X0_I0+4+0+0:vgprValuA_X0_I0+4+0+0+1], a[128:135]
 // Ci += Ar*Bi
/*  mfmaIndex:120  */
_buffer_load_b128 v[vgprG2LA+8:vgprG2LA+8+3], v[vgprGlobalReadOffsetA+0], s[sgprSrdA:sgprSrdA+3], s[sgprScalarGlobalReadOffsetA+1], offen offset:0 // G -> Reg 0_0_2_0
v_mfma_f64_16x16x4_f64 a[56+0:63+0], v[vgprValuB_X0_I0+8+0+0:vgprValuB_X0_I0+8+0+0+1], v[vgprValuA_X0_I0+4+0+0:vgprValuA_X0_I0+4+0+0+1], a[56:63]
 // Cr += Ar*Br
/*  mfmaIndex:121  */
v_mfma_f64_16x16x4_f64 a[152+0:159+0], v[vgprValuB_X0_I0+8+0+0:vgprValuB_X0_I0+8+0+0+1], v[vgprValuA_X0_I0+4+0+0+2:vgprValuA_X0_I0+4+0+0+2+1], a[152:159]
 // Ci += Ai*Br
/*  mfmaIndex:122  */
v_mfma_f64_16x16x4_f64 a[56+0:63+0], v[vgprValuB_X0_I0+8+0+0+2:vgprValuB_X0_I0+8+0+0+2+1], v[120:121], a[56:63]
 // Cr += -Ai*Bi
/*  mfmaIndex:123  */
v_mfma_f64_16x16x4_f64 a[152+0:159+0], v[vgprValuB_X0_I0+8+0+0+2:vgprValuB_X0_I0+8+0+0+2+1], v[vgprValuA_X0_I0+4+0+0:vgprValuA_X0_I0+4+0+0+1], a[152:159]
 // Ci += Ar*Bi
/*  mfmaIndex:124  */
/* sched write - iter 2 writesPerItem=1 */
s_waitcnt vmcnt(0)                                 // lgkmcnt=-1 vmcnt=0wait for global read before writing to local
_ds_store_b128 v[vgprLocalWriteAddrA], v[vgprG2LA+12:vgprG2LA+12+3] offset:13824 // lwoA_0_0_3_0 = (0*LSCA)*(MT0I+PAD) + (3*LSPA) = 13824
v_mfma_f64_16x16x4_f64 a[80+0:87+0], v[vgprValuB_X0_I0+12+0+0:vgprValuB_X0_I0+12+0+0+1], v[vgprValuA_X0_I0+4+0+0:vgprValuA_X0_I0+4+0+0+1], a[80:87]
 // Cr += Ar*Br
/*  mfmaIndex:125  */
_buffer_load_b128 v[vgprG2LA+12:vgprG2LA+12+3], v[vgprGlobalReadOffsetA+0], s[sgprSrdA:sgprSrdA+3], s[sgprScalarGlobalReadOffsetA+2], offen offset:0 // G -> Reg 0_0_3_0
v_mfma_f64_16x16x4_f64 a[176+0:183+0], v[vgprValuB_X0_I0+12+0+0:vgprValuB_X0_I0+12+0+0+1], v[vgprValuA_X0_I0+4+0+0+2:vgprValuA_X0_I0+4+0+0+2+1], a[176:183]
 // Ci += Ai*Br
/*  mfmaIndex:126  */
v_mfma_f64_16x16x4_f64 a[80+0:87+0], v[vgprValuB_X0_I0+12+0+0+2:vgprValuB_X0_I0+12+0+0+2+1], v[120:121], a[80:87]
 // Cr += -Ai*Bi
/*  mfmaIndex:127  */
v_mfma_f64_16x16x4_f64 a[176+0:183+0], v[vgprValuB_X0_I0+12+0+0+2:vgprValuB_X0_I0+12+0+0+2+1], v[vgprValuA_X0_I0+4+0+0:vgprValuA_X0_I0+4+0+0+1], a[176:183]
 // Ci += Ar*Bi
/*  mfmaIndex:128  */
v_add_f64 v[120:121], -v[vgprValuA_X0_I0+8+0+0+2:vgprValuA_X0_I0+8+0+0+2+1], 0 // Ai=-Ai
v_mfma_f64_16x16x4_f64 a[16+0:23+0], v[vgprValuB_X0_I0+0+0+0:vgprValuB_X0_I0+0+0+0+1], v[vgprValuA_X0_I0+8+0+0:vgprValuA_X0_I0+8+0+0+1], a[16:23]
 // Cr += Ar*Br
/*  mfmaIndex:129  */
v_mfma_f64_16x16x4_f64 a[112+0:119+0], v[vgprValuB_X0_I0+0+0+0:vgprValuB_X0_I0+0+0+0+1], v[vgprValuA_X0_I0+8+0+0+2:vgprValuA_X0_I0+8+0+0+2+1], a[112:119]
 // Ci += Ai*Br
/*  mfmaIndex:130  */
/* sched write - iter 2 writesPerItem=1 */
s_waitcnt vmcnt(0)                                 // lgkmcnt=-1 vmcnt=0wait for global read before writing to local
_ds_store_b128 v[vgprLocalWriteAddrA], v[vgprG2LA+16:vgprG2LA+16+3] offset:18432 // lwoA_0_0_4_0 = (0*LSCA)*(MT0I+PAD) + (4*LSPA) = 18432
v_mfma_f64_16x16x4_f64 a[16+0:23+0], v[vgprValuB_X0_I0+0+0+0+2:vgprValuB_X0_I0+0+0+0+2+1], v[120:121], a[16:23]
 // Cr += -Ai*Bi
/*  mfmaIndex:131  */
_buffer_load_b128 v[vgprG2LA+16:vgprG2LA+16+3], v[vgprGlobalReadOffsetA+0], s[sgprSrdA:sgprSrdA+3], s[sgprScalarGlobalReadOffsetA+3], offen offset:0 // G -> Reg 0_0_4_0
v_mfma_f64_16x16x4_f64 a[112+0:119+0], v[vgprValuB_X0_I0+0+0+0+2:vgprValuB_X0_I0+0+0+0+2+1], v[vgprValuA_X0_I0+8+0+0:vgprValuA_X0_I0+8+0+0+1], a[112:119]
 // Ci += Ar*Bi
/*  mfmaIndex:132  */
v_mfma_f64_16x16x4_f64 a[40+0:47+0], v[vgprValuB_X0_I0+4+0+0:vgprValuB_X0_I0+4+0+0+1], v[vgprValuA_X0_I0+8+0+0:vgprValuA_X0_I0+8+0+0+1], a[40:47]
 // Cr += Ar*Br
/*  mfmaIndex:133  */
v_mfma_f64_16x16x4_f64 a[136+0:143+0], v[vgprValuB_X0_I0+4+0+0:vgprValuB_X0_I0+4+0+0+1], v[vgprValuA_X0_I0+8+0+0+2:vgprValuA_X0_I0+8+0+0+2+1], a[136:143]
 // Ci += Ai*Br
/*  mfmaIndex:134  */
v_mfma_f64_16x16x4_f64 a[40+0:47+0], v[vgprValuB_X0_I0+4+0+0+2:vgprValuB_X0_I0+4+0+0+2+1], v[120:121], a[40:47]
 // Cr += -Ai*Bi
/*  mfmaIndex:135  */
/* sched write - iter 2 writesPerItem=1 */
s_waitcnt vmcnt(0)                                 // lgkmcnt=-1 vmcnt=0wait for global read before writing to local
_ds_store_b128 v[vgprLocalWriteAddrA], v[vgprG2LA+20:vgprG2LA+20+3] offset:23040 // lwoA_0_0_5_0 = (0*LSCA)*(MT0I+PAD) + (5*LSPA) = 23040
v_mfma_f64_16x16x4_f64 a[136+0:143+0], v[vgprValuB_X0_I0+4+0+0+2:vgprValuB_X0_I0+4+0+0+2+1], v[vgprValuA_X0_I0+8+0+0:vgprValuA_X0_I0+8+0+0+1], a[136:143]
 // Ci += Ar*Bi
/*  mfmaIndex:136  */
_buffer_load_b128 v[vgprG2LA+20:vgprG2LA+20+3], v[vgprGlobalReadOffsetA+0], s[sgprSrdA:sgprSrdA+3], s[sgprScalarGlobalReadOffsetA+4], offen offset:0 // G -> Reg 0_0_5_0
v_mfma_f64_16x16x4_f64 a[64+0:71+0], v[vgprValuB_X0_I0+8+0+0:vgprValuB_X0_I0+8+0+0+1], v[vgprValuA_X0_I0+8+0+0:vgprValuA_X0_I0+8+0+0+1], a[64:71]
 // Cr += Ar*Br
/*  mfmaIndex:137  */
v_mfma_f64_16x16x4_f64 a[160+0:167+0], v[vgprValuB_X0_I0+8+0+0:vgprValuB_X0_I0+8+0+0+1], v[vgprValuA_X0_I0+8+0+0+2:vgprValuA_X0_I0+8+0+0+2+1], a[160:167]
 // Ci += Ai*Br
/*  mfmaIndex:138  */
v_mfma_f64_16x16x4_f64 a[64+0:71+0], v[vgprValuB_X0_I0+8+0+0+2:vgprValuB_X0_I0+8+0+0+2+1], v[120:121], a[64:71]
 // Cr += -Ai*Bi
/*  mfmaIndex:139  */
v_mfma_f64_16x16x4_f64 a[160+0:167+0], v[vgprValuB_X0_I0+8+0+0+2:vgprValuB_X0_I0+8+0+0+2+1], v[vgprValuA_X0_I0+8+0+0:vgprValuA_X0_I0+8+0+0+1], a[160:167]
 // Ci += Ar*Bi
/*  mfmaIndex:140  */
/* sched write - iter 2 writesPerItem=1 */
s_waitcnt vmcnt(0)                                 // lgkmcnt=-1 vmcnt=0wait for global read before writing to local
_ds_store_b128 v[vgprLocalWriteAddrB], v[vgprG2LB+0:vgprG2LB+0+3] offset:0 // lwoB_0_0_0_0 = (0*LSCB) + (0*LSPB)(*MT1J+PAD) = 0
v_mfma_f64_16x16x4_f64 a[88+0:95+0], v[vgprValuB_X0_I0+12+0+0:vgprValuB_X0_I0+12+0+0+1], v[vgprValuA_X0_I0+8+0+0:vgprValuA_X0_I0+8+0+0+1], a[88:95]
 // Cr += Ar*Br
/*  mfmaIndex:141  */
_buffer_load_b128 v[vgprG2LB+0:vgprG2LB+0+3], v[vgprGlobalReadOffsetB+0], s[sgprSrdB:sgprSrdB+3], 0, offen offset:0 // G -> Reg 0_0_0_0
v_mfma_f64_16x16x4_f64 a[184+0:191+0], v[vgprValuB_X0_I0+12+0+0:vgprValuB_X0_I0+12+0+0+1], v[vgprValuA_X0_I0+8+0+0+2:vgprValuA_X0_I0+8+0+0+2+1], a[184:191]
 // Ci += Ai*Br
/*  mfmaIndex:142  */
v_mfma_f64_16x16x4_f64 a[88+0:95+0], v[vgprValuB_X0_I0+12+0+0+2:vgprValuB_X0_I0+12+0+0+2+1], v[120:121], a[88:95]
 // Cr += -Ai*Bi
/*  mfmaIndex:143  */

/* local read swap offsets a */

/* local read swap offsets b */

/* local read init pointers a */

/* localReadInitPointers */

/* local read init pointers b */

/* localReadInitPointers */
v_mfma_f64_16x16x4_f64 a[184+0:191+0], v[vgprValuB_X0_I0+12+0+0+2:vgprValuB_X0_I0+12+0+0+2+1], v[vgprValuA_X0_I0+8+0+0:vgprValuA_X0_I0+8+0+0+1], a[184:191]
 // Ci += Ar*Bi
/* numPrefetchIter=0 */
/* dataAtIterA=1 numReadsIterA=3 skipReadsIterA=1 readsPerIterA=3 */
/* dataAtIterB=1 numReadsIterB=3 skipReadsIterB=1 readsPerIterB=4 */


/* iter 3 (swap and reset local write pointers iteration)  */

/*  grEndMfmaIndex:6, lwStartMfmaIndex:109, lwEndMfmaIndex:178  */
/*  numMfmaForLR:11, barrierMfmaIndex:180, LocalWritePerMfma:0.190 */
/*  mfmaIndex:144  */
s_waitcnt lgkmcnt(7)                               // lgkmcnt=0 vmcnt=-1wait for prior local read local write old=0, new=7 newLW=7 newLR=0
v_add_f64 v[120:121], -v[vgprValuA_X1_I0+0+0+0+2:vgprValuA_X1_I0+0+0+0+2+1], 0 // Ai=-Ai
v_mfma_f64_16x16x4_f64 a[0+0:7+0], v[vgprValuB_X1_I0+0+0+0:vgprValuB_X1_I0+0+0+0+1], v[vgprValuA_X1_I0+0+0+0:vgprValuA_X1_I0+0+0+0+1], a[0:7]
 // Cr += Ar*Br
/*  mfmaIndex:145  */
/* sched write - iter 3 writesPerItem=1 */
s_waitcnt vmcnt(0)                                 // lgkmcnt=-1 vmcnt=0wait for global read before writing to local
_ds_store_b128 v[vgprLocalWriteAddrB], v[vgprG2LB+4:vgprG2LB+4+3] offset:4096 // lwoB_0_0_1_0 = (0*LSCB) + (1*LSPB)(*MT1J+PAD) = 4096
v_mfma_f64_16x16x4_f64 a[96+0:103+0], v[vgprValuB_X1_I0+0+0+0:vgprValuB_X1_I0+0+0+0+1], v[vgprValuA_X1_I0+0+0+0+2:vgprValuA_X1_I0+0+0+0+2+1], a[96:103]
 // Ci += Ai*Br
/*  mfmaIndex:146  */
_buffer_load_b128 v[vgprG2LB+4:vgprG2LB+4+3], v[vgprGlobalReadOffsetB+0], s[sgprSrdB:sgprSrdB+3], s[sgprScalarGlobalReadOffsetB+0], offen offset:0 // G -> Reg 0_0_1_0
v_mfma_f64_16x16x4_f64 a[0+0:7+0], v[vgprValuB_X1_I0+0+0+0+2:vgprValuB_X1_I0+0+0+0+2+1], v[120:121], a[0:7]
 // Cr += -Ai*Bi
/*  mfmaIndex:147  */
v_mfma_f64_16x16x4_f64 a[96+0:103+0], v[vgprValuB_X1_I0+0+0+0+2:vgprValuB_X1_I0+0+0+0+2+1], v[vgprValuA_X1_I0+0+0+0:vgprValuA_X1_I0+0+0+0+1], a[96:103]
 // Ci += Ar*Bi
/*  mfmaIndex:148  */
v_mfma_f64_16x16x4_f64 a[24+0:31+0], v[vgprValuB_X1_I0+4+0+0:vgprValuB_X1_I0+4+0+0+1], v[vgprValuA_X1_I0+0+0+0:vgprValuA_X1_I0+0+0+0+1], a[24:31]
 // Cr += Ar*Br
/*  mfmaIndex:149  */
v_mfma_f64_16x16x4_f64 a[120+0:127+0], v[vgprValuB_X1_I0+4+0+0:vgprValuB_X1_I0+4+0+0+1], v[vgprValuA_X1_I0+0+0+0+2:vgprValuA_X1_I0+0+0+0+2+1], a[120:127]
 // Ci += Ai*Br
/*  mfmaIndex:150  */
v_mfma_f64_16x16x4_f64 a[24+0:31+0], v[vgprValuB_X1_I0+4+0+0+2:vgprValuB_X1_I0+4+0+0+2+1], v[120:121], a[24:31]
 // Cr += -Ai*Bi
/*  mfmaIndex:151  */
/* sched write - iter 3 writesPerItem=1 */
s_waitcnt vmcnt(0)                                 // lgkmcnt=-1 vmcnt=0wait for global read before writing to local
_ds_store_b128 v[vgprLocalWriteAddrB], v[vgprG2LB+8:vgprG2LB+8+3] offset:8192 // lwoB_0_0_2_0 = (0*LSCB) + (2*LSPB)(*MT1J+PAD) = 8192
v_mfma_f64_16x16x4_f64 a[120+0:127+0], v[vgprValuB_X1_I0+4+0+0+2:vgprValuB_X1_I0+4+0+0+2+1], v[vgprValuA_X1_I0+0+0+0:vgprValuA_X1_I0+0+0+0+1], a[120:127]
 // Ci += Ar*Bi
/*  mfmaIndex:152  */
_buffer_load_b128 v[vgprG2LB+8:vgprG2LB+8+3], v[vgprGlobalReadOffsetB+0], s[sgprSrdB:sgprSrdB+3], s[sgprScalarGlobalReadOffsetB+1], offen offset:0 // G -> Reg 0_0_2_0
v_mfma_f64_16x16x4_f64 a[48+0:55+0], v[vgprValuB_X1_I0+8+0+0:vgprValuB_X1_I0+8+0+0+1], v[vgprValuA_X1_I0+0+0+0:vgprValuA_X1_I0+0+0+0+1], a[48:55]
 // Cr += Ar*Br
/*  mfmaIndex:153  */
v_mfma_f64_16x16x4_f64 a[144+0:151+0], v[vgprValuB_X1_I0+8+0+0:vgprValuB_X1_I0+8+0+0+1], v[vgprValuA_X1_I0+0+0+0+2:vgprValuA_X1_I0+0+0+0+2+1], a[144:151]
 // Ci += Ai*Br
/*  mfmaIndex:154  */
v_mfma_f64_16x16x4_f64 a[48+0:55+0], v[vgprValuB_X1_I0+8+0+0+2:vgprValuB_X1_I0+8+0+0+2+1], v[120:121], a[48:55]
 // Cr += -Ai*Bi
/*  mfmaIndex:155  */
v_mfma_f64_16x16x4_f64 a[144+0:151+0], v[vgprValuB_X1_I0+8+0+0+2:vgprValuB_X1_I0+8+0+0+2+1], v[vgprValuA_X1_I0+0+0+0:vgprValuA_X1_I0+0+0+0+1], a[144:151]
 // Ci += Ar*Bi
/*  mfmaIndex:156  */
/* sched write - iter 3 writesPerItem=1 */
s_waitcnt vmcnt(0)                                 // lgkmcnt=-1 vmcnt=0wait for global read before writing to local
_ds_store_b128 v[vgprLocalWriteAddrB], v[vgprG2LB+12:vgprG2LB+12+3] offset:12288 // lwoB_0_0_3_0 = (0*LSCB) + (3*LSPB)(*MT1J+PAD) = 12288
v_mfma_f64_16x16x4_f64 a[72+0:79+0], v[vgprValuB_X1_I0+12+0+0:vgprValuB_X1_I0+12+0+0+1], v[vgprValuA_X1_I0+0+0+0:vgprValuA_X1_I0+0+0+0+1], a[72:79]
 // Cr += Ar*Br
/*  mfmaIndex:157  */
_buffer_load_b128 v[vgprG2LB+12:vgprG2LB+12+3], v[vgprGlobalReadOffsetB+0], s[sgprSrdB:sgprSrdB+3], s[sgprScalarGlobalReadOffsetB+2], offen offset:0 // G -> Reg 0_0_3_0
v_mfma_f64_16x16x4_f64 a[168+0:175+0], v[vgprValuB_X1_I0+12+0+0:vgprValuB_X1_I0+12+0+0+1], v[vgprValuA_X1_I0+0+0+0+2:vgprValuA_X1_I0+0+0+0+2+1], a[168:175]
 // Ci += Ai*Br
/*  mfmaIndex:158  */
v_mfma_f64_16x16x4_f64 a[72+0:79+0], v[vgprValuB_X1_I0+12+0+0+2:vgprValuB_X1_I0+12+0+0+2+1], v[120:121], a[72:79]
 // Cr += -Ai*Bi
/*  mfmaIndex:159  */
v_mfma_f64_16x16x4_f64 a[168+0:175+0], v[vgprValuB_X1_I0+12+0+0+2:vgprValuB_X1_I0+12+0+0+2+1], v[vgprValuA_X1_I0+0+0+0:vgprValuA_X1_I0+0+0+0+1], a[168:175]
 // Ci += Ar*Bi
/*  mfmaIndex:160  */
v_add_f64 v[120:121], -v[vgprValuA_X1_I0+4+0+0+2:vgprValuA_X1_I0+4+0+0+2+1], 0 // Ai=-Ai
v_mfma_f64_16x16x4_f64 a[8+0:15+0], v[vgprValuB_X1_I0+0+0+0:vgprValuB_X1_I0+0+0+0+1], v[vgprValuA_X1_I0+4+0+0:vgprValuA_X1_I0+4+0+0+1], a[8:15]
 // Cr += Ar*Br
/*  mfmaIndex:161  */
/* sched write - iter 3 writesPerItem=1 */
s_waitcnt vmcnt(0)                                 // lgkmcnt=-1 vmcnt=0wait for global read before writing to local
_ds_store_b128 v[vgprLocalWriteAddrB], v[vgprG2LB+16:vgprG2LB+16+3] offset:16384 // lwoB_0_0_4_0 = (0*LSCB) + (4*LSPB)(*MT1J+PAD) = 16384
v_mfma_f64_16x16x4_f64 a[104+0:111+0], v[vgprValuB_X1_I0+0+0+0:vgprValuB_X1_I0+0+0+0+1], v[vgprValuA_X1_I0+4+0+0+2:vgprValuA_X1_I0+4+0+0+2+1], a[104:111]
 // Ci += Ai*Br
/*  mfmaIndex:162  */
_buffer_load_b128 v[vgprG2LB+16:vgprG2LB+16+3], v[vgprGlobalReadOffsetB+0], s[sgprSrdB:sgprSrdB+3], s[sgprScalarGlobalReadOffsetB+3], offen offset:0 // G -> Reg 0_0_4_0
v_mfma_f64_16x16x4_f64 a[8+0:15+0], v[vgprValuB_X1_I0+0+0+0+2:vgprValuB_X1_I0+0+0+0+2+1], v[120:121], a[8:15]
 // Cr += -Ai*Bi
/*  mfmaIndex:163  */
v_mfma_f64_16x16x4_f64 a[104+0:111+0], v[vgprValuB_X1_I0+0+0+0+2:vgprValuB_X1_I0+0+0+0+2+1], v[vgprValuA_X1_I0+4+0+0:vgprValuA_X1_I0+4+0+0+1], a[104:111]
 // Ci += Ar*Bi
/*  mfmaIndex:164  */
v_mfma_f64_16x16x4_f64 a[32+0:39+0], v[vgprValuB_X1_I0+4+0+0:vgprValuB_X1_I0+4+0+0+1], v[vgprValuA_X1_I0+4+0+0:vgprValuA_X1_I0+4+0+0+1], a[32:39]
 // Cr += Ar*Br
/*  mfmaIndex:165  */
v_mfma_f64_16x16x4_f64 a[128+0:135+0], v[vgprValuB_X1_I0+4+0+0:vgprValuB_X1_I0+4+0+0+1], v[vgprValuA_X1_I0+4+0+0+2:vgprValuA_X1_I0+4+0+0+2+1], a[128:135]
 // Ci += Ai*Br
/*  mfmaIndex:166  */
/* sched write - iter 3 writesPerItem=1 */
s_waitcnt vmcnt(0)                                 // lgkmcnt=-1 vmcnt=0wait for global read before writing to local
_ds_store_b128 v[vgprLocalWriteAddrB], v[vgprG2LB+20:vgprG2LB+20+3] offset:20480 // lwoB_0_0_5_0 = (0*LSCB) + (5*LSPB)(*MT1J+PAD) = 20480
v_mfma_f64_16x16x4_f64 a[32+0:39+0], v[vgprValuB_X1_I0+4+0+0+2:vgprValuB_X1_I0+4+0+0+2+1], v[120:121], a[32:39]
 // Cr += -Ai*Bi
/*  mfmaIndex:167  */
_buffer_load_b128 v[vgprG2LB+20:vgprG2LB+20+3], v[vgprGlobalReadOffsetB+0], s[sgprSrdB:sgprSrdB+3], s[sgprScalarGlobalReadOffsetB+4], offen offset:0 // G -> Reg 0_0_5_0
v_mfma_f64_16x16x4_f64 a[128+0:135+0], v[vgprValuB_X1_I0+4+0+0+2:vgprValuB_X1_I0+4+0+0+2+1], v[vgprValuA_X1_I0+4+0+0:vgprValuA_X1_I0+4+0+0+1], a[128:135]
 // Ci += Ar*Bi
/*  mfmaIndex:168  */
v_mfma_f64_16x16x4_f64 a[56+0:63+0], v[vgprValuB_X1_I0+8+0+0:vgprValuB_X1_I0+8+0+0+1], v[vgprValuA_X1_I0+4+0+0:vgprValuA_X1_I0+4+0+0+1], a[56:63]
 // Cr += Ar*Br
/*  mfmaIndex:169  */
v_mfma_f64_16x16x4_f64 a[152+0:159+0], v[vgprValuB_X1_I0+8+0+0:vgprValuB_X1_I0+8+0+0+1], v[vgprValuA_X1_I0+4+0+0+2:vgprValuA_X1_I0+4+0+0+2+1], a[152:159]
 // Ci += Ai*Br
/*  mfmaIndex:170  */
v_mfma_f64_16x16x4_f64 a[56+0:63+0], v[vgprValuB_X1_I0+8+0+0+2:vgprValuB_X1_I0+8+0+0+2+1], v[120:121], a[56:63]
 // Cr += -Ai*Bi
/*  mfmaIndex:171  */
v_mfma_f64_16x16x4_f64 a[152+0:159+0], v[vgprValuB_X1_I0+8+0+0+2:vgprValuB_X1_I0+8+0+0+2+1], v[vgprValuA_X1_I0+4+0+0:vgprValuA_X1_I0+4+0+0+1], a[152:159]
 // Ci += Ar*Bi
/*  mfmaIndex:172  */
/* sched write - iter 3 writesPerItem=1 */
s_waitcnt vmcnt(0)                                 // lgkmcnt=-1 vmcnt=0wait for global read before writing to local
_ds_store_b128 v[vgprLocalWriteAddrB], v[vgprG2LB+24:vgprG2LB+24+3] offset:24576 // lwoB_0_0_6_0 = (0*LSCB) + (6*LSPB)(*MT1J+PAD) = 24576
v_mfma_f64_16x16x4_f64 a[80+0:87+0], v[vgprValuB_X1_I0+12+0+0:vgprValuB_X1_I0+12+0+0+1], v[vgprValuA_X1_I0+4+0+0:vgprValuA_X1_I0+4+0+0+1], a[80:87]
 // Cr += Ar*Br
/*  mfmaIndex:173  */
_buffer_load_b128 v[vgprG2LB+24:vgprG2LB+24+3], v[vgprGlobalReadOffsetB+0], s[sgprSrdB:sgprSrdB+3], s[sgprScalarGlobalReadOffsetB+5], offen offset:0 // G -> Reg 0_0_6_0
v_mfma_f64_16x16x4_f64 a[176+0:183+0], v[vgprValuB_X1_I0+12+0+0:vgprValuB_X1_I0+12+0+0+1], v[vgprValuA_X1_I0+4+0+0+2:vgprValuA_X1_I0+4+0+0+2+1], a[176:183]
 // Ci += Ai*Br
/*  mfmaIndex:174  */
v_mfma_f64_16x16x4_f64 a[80+0:87+0], v[vgprValuB_X1_I0+12+0+0+2:vgprValuB_X1_I0+12+0+0+2+1], v[120:121], a[80:87]
 // Cr += -Ai*Bi
/*  mfmaIndex:175  */
v_mfma_f64_16x16x4_f64 a[176+0:183+0], v[vgprValuB_X1_I0+12+0+0+2:vgprValuB_X1_I0+12+0+0+2+1], v[vgprValuA_X1_I0+4+0+0:vgprValuA_X1_I0+4+0+0+1], a[176:183]
 // Ci += Ar*Bi
/*  mfmaIndex:176  */
v_add_f64 v[120:121], -v[vgprValuA_X1_I0+8+0+0+2:vgprValuA_X1_I0+8+0+0+2+1], 0 // Ai=-Ai
v_mfma_f64_16x16x4_f64 a[16+0:23+0], v[vgprValuB_X1_I0+0+0+0:vgprValuB_X1_I0+0+0+0+1], v[vgprValuA_X1_I0+8+0+0:vgprValuA_X1_I0+8+0+0+1], a[16:23]
 // Cr += Ar*Br
/*  mfmaIndex:177  */
/* sched write - iter 3 writesPerItem=1 */
s_waitcnt vmcnt(0)                                 // lgkmcnt=-1 vmcnt=0wait for global read before writing to local
_ds_store_b128 v[vgprLocalWriteAddrB], v[vgprG2LB+28:vgprG2LB+28+3] offset:28672 // lwoB_0_0_7_0 = (0*LSCB) + (7*LSPB)(*MT1J+PAD) = 28672
v_mfma_f64_16x16x4_f64 a[112+0:119+0], v[vgprValuB_X1_I0+0+0+0:vgprValuB_X1_I0+0+0+0+1], v[vgprValuA_X1_I0+8+0+0+2:vgprValuA_X1_I0+8+0+0+2+1], a[112:119]
 // Ci += Ai*Br
/*  mfmaIndex:178  */
_buffer_load_b128 v[vgprG2LB+28:vgprG2LB+28+3], v[vgprGlobalReadOffsetB+0], s[sgprSrdB:sgprSrdB+3], s[sgprScalarGlobalReadOffsetB+6], offen offset:0 // G -> Reg 0_0_7_0

/* local write swap offsets a */

/* local write swap offsets b */
v_mfma_f64_16x16x4_f64 a[16+0:23+0], v[vgprValuB_X1_I0+0+0+0+2:vgprValuB_X1_I0+0+0+0+2+1], v[120:121], a[16:23]
 // Cr += -Ai*Bi
/*  mfmaIndex:179  */
v_mfma_f64_16x16x4_f64 a[112+0:119+0], v[vgprValuB_X1_I0+0+0+0+2:vgprValuB_X1_I0+0+0+0+2+1], v[vgprValuA_X1_I0+8+0+0:vgprValuA_X1_I0+8+0+0+1], a[112:119]
 // Ci += Ar*Bi
s_setprio 0                                        // store optimization
/*  mfmaIndex:180  */
s_waitcnt lgkmcnt(0)                               // lgkmcnt=0 vmcnt=-13wait for local write
// Skip force waitcnt0
s_barrier //
v_mfma_f64_16x16x4_f64 a[40+0:47+0], v[vgprValuB_X1_I0+4+0+0:vgprValuB_X1_I0+4+0+0+1], v[vgprValuA_X1_I0+8+0+0:vgprValuA_X1_I0+8+0+0+1], a[40:47]
 // Cr += Ar*Br
/*  mfmaIndex:181  */
s_setprio 3                                        // store optimization
_ds_load_b128 v[vgprValuA_X0_I0+0:vgprValuA_X0_I0+0+3], v[vgprLocalReadAddrA] offset:0 // L -> Reg lro=0 swapByteOffset=0 ti=32 vIdx=0 rIdx=0 oIdx=0 buffer=0 iui=0
v_mfma_f64_16x16x4_f64 a[136+0:143+0], v[vgprValuB_X1_I0+4+0+0:vgprValuB_X1_I0+4+0+0+1], v[vgprValuA_X1_I0+8+0+0+2:vgprValuA_X1_I0+8+0+0+2+1], a[136:143]
 // Ci += Ai*Br
/*  mfmaIndex:182  */
_ds_load_b128 v[vgprValuB_X0_I0+0:vgprValuB_X0_I0+0+3], v[vgprLocalReadAddrB] offset:0 // L -> Reg lro=0 swapByteOffset=0 ti=32 vIdx=0 rIdx=0 oIdx=0 buffer=0 iui=0
v_mfma_f64_16x16x4_f64 a[40+0:47+0], v[vgprValuB_X1_I0+4+0+0+2:vgprValuB_X1_I0+4+0+0+2+1], v[120:121], a[40:47]
 // Cr += -Ai*Bi
/*  mfmaIndex:183  */
_ds_load_b128 v[vgprValuA_X0_I0+4:vgprValuA_X0_I0+4+3], v[vgprLocalReadAddrA] offset:9216 // L -> Reg lro=0 swapByteOffset=0 ti=32 vIdx=1 rIdx=0 oIdx=0 buffer=0 iui=0
v_mfma_f64_16x16x4_f64 a[136+0:143+0], v[vgprValuB_X1_I0+4+0+0+2:vgprValuB_X1_I0+4+0+0+2+1], v[vgprValuA_X1_I0+8+0+0:vgprValuA_X1_I0+8+0+0+1], a[136:143]
 // Ci += Ar*Bi
/*  mfmaIndex:184  */
_ds_load_b128 v[vgprValuA_X0_I0+8:vgprValuA_X0_I0+8+3], v[vgprLocalReadAddrA] offset:18432 // L -> Reg lro=0 swapByteOffset=0 ti=32 vIdx=2 rIdx=0 oIdx=0 buffer=0 iui=0
v_mfma_f64_16x16x4_f64 a[64+0:71+0], v[vgprValuB_X1_I0+8+0+0:vgprValuB_X1_I0+8+0+0+1], v[vgprValuA_X1_I0+8+0+0:vgprValuA_X1_I0+8+0+0+1], a[64:71]
 // Cr += Ar*Br
/*  mfmaIndex:185  */
_ds_load_b128 v[vgprValuB_X0_I0+4:vgprValuB_X0_I0+4+3], v[vgprLocalReadAddrB] offset:512 // L -> Reg lro=0 swapByteOffset=0 ti=32 vIdx=1 rIdx=0 oIdx=0 buffer=0 iui=0
v_mfma_f64_16x16x4_f64 a[160+0:167+0], v[vgprValuB_X1_I0+8+0+0:vgprValuB_X1_I0+8+0+0+1], v[vgprValuA_X1_I0+8+0+0+2:vgprValuA_X1_I0+8+0+0+2+1], a[160:167]
 // Ci += Ai*Br
/*  mfmaIndex:186  */
_ds_load_b128 v[vgprValuB_X0_I0+8:vgprValuB_X0_I0+8+3], v[vgprLocalReadAddrB] offset:1024 // L -> Reg lro=0 swapByteOffset=0 ti=32 vIdx=2 rIdx=0 oIdx=0 buffer=0 iui=0
v_mfma_f64_16x16x4_f64 a[64+0:71+0], v[vgprValuB_X1_I0+8+0+0+2:vgprValuB_X1_I0+8+0+0+2+1], v[120:121], a[64:71]
 // Cr += -Ai*Bi
/*  mfmaIndex:187  */
_ds_load_b128 v[vgprValuB_X0_I0+12:vgprValuB_X0_I0+12+3], v[vgprLocalReadAddrB] offset:1536 // L -> Reg lro=0 swapByteOffset=0 ti=32 vIdx=3 rIdx=0 oIdx=0 buffer=0 iui=0
v_mfma_f64_16x16x4_f64 a[160+0:167+0], v[vgprValuB_X1_I0+8+0+0+2:vgprValuB_X1_I0+8+0+0+2+1], v[vgprValuA_X1_I0+8+0+0:vgprValuA_X1_I0+8+0+0+1], a[160:167]
 // Ci += Ar*Bi
/*  mfmaIndex:188  */
v_mfma_f64_16x16x4_f64 a[88+0:95+0], v[vgprValuB_X1_I0+12+0+0:vgprValuB_X1_I0+12+0+0+1], v[vgprValuA_X1_I0+8+0+0:vgprValuA_X1_I0+8+0+0+1], a[88:95]
 // Cr += Ar*Br
/*  mfmaIndex:189  */
v_mfma_f64_16x16x4_f64 a[184+0:191+0], v[vgprValuB_X1_I0+12+0+0:vgprValuB_X1_I0+12+0+0+1], v[vgprValuA_X1_I0+8+0+0+2:vgprValuA_X1_I0+8+0+0+2+1], a[184:191]
 // Ci += Ai*Br
/*  mfmaIndex:190  */
v_mfma_f64_16x16x4_f64 a[88+0:95+0], v[vgprValuB_X1_I0+12+0+0+2:vgprValuB_X1_I0+12+0+0+2+1], v[120:121], a[88:95]
 // Cr += -Ai*Bi
/*  mfmaIndex:191  */
v_mfma_f64_16x16x4_f64 a[184+0:191+0], v[vgprValuB_X1_I0+12+0+0+2:vgprValuB_X1_I0+12+0+0+2+1], v[vgprValuA_X1_I0+8+0+0:vgprValuA_X1_I0+8+0+0+1], a[184:191]
 // Ci += Ar*Bi
s_setprio 0                                        // store optimization
/* numPrefetchIter=1 */
/* dataAtIterA=2 numReadsIterA=3 skipReadsIterA=1 readsPerIterA=3 */
/* dataAtIterB=2 numReadsIterB=3 skipReadsIterB=1 readsPerIterB=4 */


/******************************************/
/* Unrolled Loop - End 2/2 (final)        */
/******************************************/


/* closeLoop loopL finalLoop=1 tailLoop=0 */
s_sub_u32 s[sgprLoopCounterL], s[sgprLoopCounterL], 1 // dec counterL
s_cmp_eq_i32 s[sgprLoopCounterL], 0x2              // counterL==2
s_cbranch_scc0 LoopBeginL_1                        // restart LoopL
LoopEndL_evenexit_4: // unroll loop eveniter exit
s_branch LoopEndL_2                                // exit unroll loopL (and skip second exit code)
LoopEndL_oddexit_3: // unroll loop odditer exit

/* Select high bank of LDS */
LoopEndL_2:


/* Before NLL: Check VGPR.checkin for INT8 LW */


/******************************************/
/* Ord. NoGlobalLoadLoop - Begin                                      */
/******************************************/


	;; [unrolled: 1-line block ×3, first 2 shown]
/* iter 0 */

/*  grEndMfmaIndex:6, lwStartMfmaIndex:109, lwEndMfmaIndex:178  */
/*  numMfmaForLR:11, barrierMfmaIndex:180, LocalWritePerMfma:0.190 */
/*  mfmaIndex:0  */
s_waitcnt lgkmcnt(0)                               // lgkmcnt=0 vmcnt=-1wait for prior local read local write old=0, new=0 newLW=0 newLR=0
v_add_f64 v[120:121], -v[vgprValuA_X0_I0+0+0+0+2:vgprValuA_X0_I0+0+0+0+2+1], 0 // Ai=-Ai
v_mfma_f64_16x16x4_f64 a[0+0:7+0], v[vgprValuB_X0_I0+0+0+0:vgprValuB_X0_I0+0+0+0+1], v[vgprValuA_X0_I0+0+0+0:vgprValuA_X0_I0+0+0+0+1], a[0:7]
 // Cr += Ar*Br
/*  mfmaIndex:1  */
_ds_load_b128 v[vgprValuA_X1_I0+0:vgprValuA_X1_I0+0+3], v[vgprLocalReadAddrA] offset:64 // L -> Reg lro=4 swapByteOffset=0 ti=32 vIdx=0 rIdx=0 oIdx=0 buffer=1 iui=0

/* global read inc A loopL */
s_cmp_eq_u32 s[sgprLoopCounterL], s[sgprStaggerUIter] // Is this the wrapIter?
s_cselect_b32 s76, s[sgprWrapUA+0], s[sgprGlobalReadIncsA+0] // incLower <- ?
s_cselect_b32 s77, s[sgprWrapUA+1], 0              // incUpper <- ?
v_mfma_f64_16x16x4_f64 a[96+0:103+0], v[vgprValuB_X0_I0+0+0+0:vgprValuB_X0_I0+0+0+0+1], v[vgprValuA_X0_I0+0+0+0+2:vgprValuA_X0_I0+0+0+0+2+1], a[96:103]
 // Ci += Ai*Br
/*  mfmaIndex:2  */
_ds_load_b128 v[vgprValuB_X1_I0+0:vgprValuB_X1_I0+0+3], v[vgprLocalReadAddrB] offset:8192 // L -> Reg lro=512 swapByteOffset=0 ti=32 vIdx=0 rIdx=0 oIdx=0 buffer=1 iui=0
s_add_u32 s[sgprSrdA+0], s[sgprSrdA+0], s76        // gra SRD += inc(lower)
s_addc_u32  s[sgprSrdA+1], s[sgprSrdA+1], s77      // gra SRD += inc(upper)
s_sub_u32 s[sgprShadowLimitA+0], s[sgprShadowLimitA+0], s76 // limit -= inc)
v_mfma_f64_16x16x4_f64 a[0+0:7+0], v[vgprValuB_X0_I0+0+0+0+2:vgprValuB_X0_I0+0+0+0+2+1], v[120:121], a[0:7]
 // Cr += -Ai*Bi
/*  mfmaIndex:3  */
_ds_load_b128 v[vgprValuA_X1_I0+4:vgprValuA_X1_I0+4+3], v[vgprLocalReadAddrA] offset:9280 // L -> Reg lro=4 swapByteOffset=0 ti=32 vIdx=1 rIdx=0 oIdx=0 buffer=1 iui=0
s_subb_u32 s[sgprShadowLimitA+1], s[sgprShadowLimitA+1], s77 // limit -= inc)
s_cmp_eq_u32 s[sgprShadowLimitA+1], 0              // are we within 2^32?
s_cselect_b32 s[sgprSrdA+2], s[sgprShadowLimitA+0], BufferLimitA // Move shadow to real if we are within 2^32
v_mfma_f64_16x16x4_f64 a[96+0:103+0], v[vgprValuB_X0_I0+0+0+0+2:vgprValuB_X0_I0+0+0+0+2+1], v[vgprValuA_X0_I0+0+0+0:vgprValuA_X0_I0+0+0+0+1], a[96:103]
 // Ci += Ar*Bi
/*  mfmaIndex:4  */
_ds_load_b128 v[vgprValuA_X1_I0+8:vgprValuA_X1_I0+8+3], v[vgprLocalReadAddrA] offset:18496 // L -> Reg lro=4 swapByteOffset=0 ti=32 vIdx=2 rIdx=0 oIdx=0 buffer=1 iui=0

/* global read inc B loopL */
s_cmp_eq_u32 s[sgprLoopCounterL], s[sgprStaggerUIter] // Is this the wrapIter?
s_cselect_b32 s76, s[sgprWrapUB+0], s[sgprGlobalReadIncsB+0] // incLower <- ?
s_cselect_b32 s77, s[sgprWrapUB+1], 0              // incUpper <- ?
v_mfma_f64_16x16x4_f64 a[24+0:31+0], v[vgprValuB_X0_I0+4+0+0:vgprValuB_X0_I0+4+0+0+1], v[vgprValuA_X0_I0+0+0+0:vgprValuA_X0_I0+0+0+0+1], a[24:31]
 // Cr += Ar*Br
/*  mfmaIndex:5  */
_ds_load_b128 v[vgprValuB_X1_I0+4:vgprValuB_X1_I0+4+3], v[vgprLocalReadAddrB] offset:8704 // L -> Reg lro=512 swapByteOffset=0 ti=32 vIdx=1 rIdx=0 oIdx=0 buffer=1 iui=0
s_add_u32 s[sgprSrdB+0], s[sgprSrdB+0], s76        // gra SRD += inc(lower)
s_addc_u32  s[sgprSrdB+1], s[sgprSrdB+1], s77      // gra SRD += inc(upper)
s_sub_u32 s[sgprShadowLimitB+0], s[sgprShadowLimitB+0], s76 // limit -= inc)
v_mfma_f64_16x16x4_f64 a[120+0:127+0], v[vgprValuB_X0_I0+4+0+0:vgprValuB_X0_I0+4+0+0+1], v[vgprValuA_X0_I0+0+0+0+2:vgprValuA_X0_I0+0+0+0+2+1], a[120:127]
 // Ci += Ai*Br
/*  mfmaIndex:6  */
_ds_load_b128 v[vgprValuB_X1_I0+8:vgprValuB_X1_I0+8+3], v[vgprLocalReadAddrB] offset:9216 // L -> Reg lro=512 swapByteOffset=0 ti=32 vIdx=2 rIdx=0 oIdx=0 buffer=1 iui=0
s_subb_u32 s[sgprShadowLimitB+1], s[sgprShadowLimitB+1], s77 // limit -= inc)
s_cmp_eq_u32 s[sgprShadowLimitB+1], 0              // are we within 2^32?
s_cselect_b32 s[sgprSrdB+2], s[sgprShadowLimitB+0], BufferLimitB // Move shadow to real if we are within 2^32
v_mfma_f64_16x16x4_f64 a[24+0:31+0], v[vgprValuB_X0_I0+4+0+0+2:vgprValuB_X0_I0+4+0+0+2+1], v[120:121], a[24:31]
 // Cr += -Ai*Bi
/*  mfmaIndex:7  */
_ds_load_b128 v[vgprValuB_X1_I0+12:vgprValuB_X1_I0+12+3], v[vgprLocalReadAddrB] offset:9728 // L -> Reg lro=512 swapByteOffset=0 ti=32 vIdx=3 rIdx=0 oIdx=0 buffer=1 iui=0
/* localReadsVacancy: latencyLeft 1 */
v_mfma_f64_16x16x4_f64 a[120+0:127+0], v[vgprValuB_X0_I0+4+0+0+2:vgprValuB_X0_I0+4+0+0+2+1], v[vgprValuA_X0_I0+0+0+0:vgprValuA_X0_I0+0+0+0+1], a[120:127]
 // Ci += Ar*Bi
/*  mfmaIndex:8  */
/* localReadsVacancy: latencyLeft 5 */
v_mfma_f64_16x16x4_f64 a[48+0:55+0], v[vgprValuB_X0_I0+8+0+0:vgprValuB_X0_I0+8+0+0+1], v[vgprValuA_X0_I0+0+0+0:vgprValuA_X0_I0+0+0+0+1], a[48:55]
 // Cr += Ar*Br
/*  mfmaIndex:9  */
/* localReadsVacancy: latencyLeft 5 */
v_mfma_f64_16x16x4_f64 a[144+0:151+0], v[vgprValuB_X0_I0+8+0+0:vgprValuB_X0_I0+8+0+0+1], v[vgprValuA_X0_I0+0+0+0+2:vgprValuA_X0_I0+0+0+0+2+1], a[144:151]
 // Ci += Ai*Br
/*  mfmaIndex:10  */
/* localReadsVacancy: latencyLeft 5 */
v_mfma_f64_16x16x4_f64 a[48+0:55+0], v[vgprValuB_X0_I0+8+0+0+2:vgprValuB_X0_I0+8+0+0+2+1], v[120:121], a[48:55]
 // Cr += -Ai*Bi
/*  mfmaIndex:11  */
/* localReadsVacancy: latencyLeft 5 */
v_mfma_f64_16x16x4_f64 a[144+0:151+0], v[vgprValuB_X0_I0+8+0+0+2:vgprValuB_X0_I0+8+0+0+2+1], v[vgprValuA_X0_I0+0+0+0:vgprValuA_X0_I0+0+0+0+1], a[144:151]
 // Ci += Ar*Bi
/*  mfmaIndex:12  */
/* localReadsVacancy: latencyLeft 5 */
v_mfma_f64_16x16x4_f64 a[72+0:79+0], v[vgprValuB_X0_I0+12+0+0:vgprValuB_X0_I0+12+0+0+1], v[vgprValuA_X0_I0+0+0+0:vgprValuA_X0_I0+0+0+0+1], a[72:79]
 // Cr += Ar*Br
/*  mfmaIndex:13  */
/* localReadsVacancy: latencyLeft 5 */
v_mfma_f64_16x16x4_f64 a[168+0:175+0], v[vgprValuB_X0_I0+12+0+0:vgprValuB_X0_I0+12+0+0+1], v[vgprValuA_X0_I0+0+0+0+2:vgprValuA_X0_I0+0+0+0+2+1], a[168:175]
 // Ci += Ai*Br
/*  mfmaIndex:14  */
/* localReadsVacancy: latencyLeft 5 */
v_mfma_f64_16x16x4_f64 a[72+0:79+0], v[vgprValuB_X0_I0+12+0+0+2:vgprValuB_X0_I0+12+0+0+2+1], v[120:121], a[72:79]
 // Cr += -Ai*Bi
/*  mfmaIndex:15  */
/* localReadsVacancy: latencyLeft 5 */
v_mfma_f64_16x16x4_f64 a[168+0:175+0], v[vgprValuB_X0_I0+12+0+0+2:vgprValuB_X0_I0+12+0+0+2+1], v[vgprValuA_X0_I0+0+0+0:vgprValuA_X0_I0+0+0+0+1], a[168:175]
 // Ci += Ar*Bi
/*  mfmaIndex:16  */
/* localReadsVacancy: latencyLeft 5 */
v_add_f64 v[120:121], -v[vgprValuA_X0_I0+4+0+0+2:vgprValuA_X0_I0+4+0+0+2+1], 0 // Ai=-Ai
v_mfma_f64_16x16x4_f64 a[8+0:15+0], v[vgprValuB_X0_I0+0+0+0:vgprValuB_X0_I0+0+0+0+1], v[vgprValuA_X0_I0+4+0+0:vgprValuA_X0_I0+4+0+0+1], a[8:15]
 // Cr += Ar*Br
/*  mfmaIndex:17  */
/* localReadsVacancy: latencyLeft 5 */
v_mfma_f64_16x16x4_f64 a[104+0:111+0], v[vgprValuB_X0_I0+0+0+0:vgprValuB_X0_I0+0+0+0+1], v[vgprValuA_X0_I0+4+0+0+2:vgprValuA_X0_I0+4+0+0+2+1], a[104:111]
 // Ci += Ai*Br
/*  mfmaIndex:18  */
/* localReadsVacancy: latencyLeft 5 */
v_mfma_f64_16x16x4_f64 a[8+0:15+0], v[vgprValuB_X0_I0+0+0+0+2:vgprValuB_X0_I0+0+0+0+2+1], v[120:121], a[8:15]
 // Cr += -Ai*Bi
/*  mfmaIndex:19  */
/* localReadsVacancy: latencyLeft 5 */
v_mfma_f64_16x16x4_f64 a[104+0:111+0], v[vgprValuB_X0_I0+0+0+0+2:vgprValuB_X0_I0+0+0+0+2+1], v[vgprValuA_X0_I0+4+0+0:vgprValuA_X0_I0+4+0+0+1], a[104:111]
 // Ci += Ar*Bi
/*  mfmaIndex:20  */
/* localReadsVacancy: latencyLeft 5 */
v_mfma_f64_16x16x4_f64 a[32+0:39+0], v[vgprValuB_X0_I0+4+0+0:vgprValuB_X0_I0+4+0+0+1], v[vgprValuA_X0_I0+4+0+0:vgprValuA_X0_I0+4+0+0+1], a[32:39]
 // Cr += Ar*Br
/*  mfmaIndex:21  */
/* localReadsVacancy: latencyLeft 5 */
v_mfma_f64_16x16x4_f64 a[128+0:135+0], v[vgprValuB_X0_I0+4+0+0:vgprValuB_X0_I0+4+0+0+1], v[vgprValuA_X0_I0+4+0+0+2:vgprValuA_X0_I0+4+0+0+2+1], a[128:135]
 // Ci += Ai*Br
/*  mfmaIndex:22  */
/* localReadsVacancy: latencyLeft 5 */
v_mfma_f64_16x16x4_f64 a[32+0:39+0], v[vgprValuB_X0_I0+4+0+0+2:vgprValuB_X0_I0+4+0+0+2+1], v[120:121], a[32:39]
 // Cr += -Ai*Bi
/*  mfmaIndex:23  */
/* localReadsVacancy: latencyLeft 5 */
v_mfma_f64_16x16x4_f64 a[128+0:135+0], v[vgprValuB_X0_I0+4+0+0+2:vgprValuB_X0_I0+4+0+0+2+1], v[vgprValuA_X0_I0+4+0+0:vgprValuA_X0_I0+4+0+0+1], a[128:135]
 // Ci += Ar*Bi
/*  mfmaIndex:24  */
/* localReadsVacancy: latencyLeft 5 */
	;; [unrolled: 16-line block ×4, first 2 shown]
v_add_f64 v[120:121], -v[vgprValuA_X0_I0+8+0+0+2:vgprValuA_X0_I0+8+0+0+2+1], 0 // Ai=-Ai
v_mfma_f64_16x16x4_f64 a[16+0:23+0], v[vgprValuB_X0_I0+0+0+0:vgprValuB_X0_I0+0+0+0+1], v[vgprValuA_X0_I0+8+0+0:vgprValuA_X0_I0+8+0+0+1], a[16:23]
 // Cr += Ar*Br
/*  mfmaIndex:33  */
/* localReadsVacancy: latencyLeft 5 */
v_mfma_f64_16x16x4_f64 a[112+0:119+0], v[vgprValuB_X0_I0+0+0+0:vgprValuB_X0_I0+0+0+0+1], v[vgprValuA_X0_I0+8+0+0+2:vgprValuA_X0_I0+8+0+0+2+1], a[112:119]
 // Ci += Ai*Br
/*  mfmaIndex:34  */
/* localReadsVacancy: latencyLeft 5 */
v_mfma_f64_16x16x4_f64 a[16+0:23+0], v[vgprValuB_X0_I0+0+0+0+2:vgprValuB_X0_I0+0+0+0+2+1], v[120:121], a[16:23]
 // Cr += -Ai*Bi
/*  mfmaIndex:35  */
/* localReadsVacancy: latencyLeft 5 */
v_mfma_f64_16x16x4_f64 a[112+0:119+0], v[vgprValuB_X0_I0+0+0+0+2:vgprValuB_X0_I0+0+0+0+2+1], v[vgprValuA_X0_I0+8+0+0:vgprValuA_X0_I0+8+0+0+1], a[112:119]
 // Ci += Ar*Bi
/*  mfmaIndex:36  */
/* localReadsVacancy: latencyLeft 5 */
v_mfma_f64_16x16x4_f64 a[40+0:47+0], v[vgprValuB_X0_I0+4+0+0:vgprValuB_X0_I0+4+0+0+1], v[vgprValuA_X0_I0+8+0+0:vgprValuA_X0_I0+8+0+0+1], a[40:47]
 // Cr += Ar*Br
/*  mfmaIndex:37  */
/* localReadsVacancy: latencyLeft 5 */
v_mfma_f64_16x16x4_f64 a[136+0:143+0], v[vgprValuB_X0_I0+4+0+0:vgprValuB_X0_I0+4+0+0+1], v[vgprValuA_X0_I0+8+0+0+2:vgprValuA_X0_I0+8+0+0+2+1], a[136:143]
 // Ci += Ai*Br
/*  mfmaIndex:38  */
/* localReadsVacancy: latencyLeft 5 */
v_mfma_f64_16x16x4_f64 a[40+0:47+0], v[vgprValuB_X0_I0+4+0+0+2:vgprValuB_X0_I0+4+0+0+2+1], v[120:121], a[40:47]
 // Cr += -Ai*Bi
/*  mfmaIndex:39  */
/* localReadsVacancy: latencyLeft 5 */
v_mfma_f64_16x16x4_f64 a[136+0:143+0], v[vgprValuB_X0_I0+4+0+0+2:vgprValuB_X0_I0+4+0+0+2+1], v[vgprValuA_X0_I0+8+0+0:vgprValuA_X0_I0+8+0+0+1], a[136:143]
 // Ci += Ar*Bi
/*  mfmaIndex:40  */
/* localReadsVacancy: latencyLeft 5 */
	;; [unrolled: 16-line block ×3, first 2 shown]
v_mfma_f64_16x16x4_f64 a[88+0:95+0], v[vgprValuB_X0_I0+12+0+0:vgprValuB_X0_I0+12+0+0+1], v[vgprValuA_X0_I0+8+0+0:vgprValuA_X0_I0+8+0+0+1], a[88:95]
 // Cr += Ar*Br
/*  mfmaIndex:45  */
/* localReadsVacancy: latencyLeft 5 */
v_mfma_f64_16x16x4_f64 a[184+0:191+0], v[vgprValuB_X0_I0+12+0+0:vgprValuB_X0_I0+12+0+0+1], v[vgprValuA_X0_I0+8+0+0+2:vgprValuA_X0_I0+8+0+0+2+1], a[184:191]
 // Ci += Ai*Br
/*  mfmaIndex:46  */
/* localReadsVacancy: latencyLeft 5 */
v_mfma_f64_16x16x4_f64 a[88+0:95+0], v[vgprValuB_X0_I0+12+0+0+2:vgprValuB_X0_I0+12+0+0+2+1], v[120:121], a[88:95]
 // Cr += -Ai*Bi
/*  mfmaIndex:47  */
/* localReadsVacancy: latencyLeft 5 */
v_mfma_f64_16x16x4_f64 a[184+0:191+0], v[vgprValuB_X0_I0+12+0+0+2:vgprValuB_X0_I0+12+0+0+2+1], v[vgprValuA_X0_I0+8+0+0:vgprValuA_X0_I0+8+0+0+1], a[184:191]
 // Ci += Ar*Bi
/* numPrefetchIter=0 */
/* dataAtIterA=-1 numReadsIterA=1 skipReadsIterA=1 readsPerIterA=3 */
/* dataAtIterB=-1 numReadsIterB=1 skipReadsIterB=1 readsPerIterB=4 */


/* iter 1 */

/*  grEndMfmaIndex:6, lwStartMfmaIndex:109, lwEndMfmaIndex:178  */
/*  numMfmaForLR:11, barrierMfmaIndex:180, LocalWritePerMfma:0.190 */
/*  mfmaIndex:48  */
_ds_load_b128 v[vgprValuA_X0_I0+0:vgprValuA_X0_I0+0+3], v[vgprLocalReadAddrA] offset:128 // L -> Reg lro=8 swapByteOffset=0 ti=32 vIdx=0 rIdx=0 oIdx=0 buffer=0 iui=0
s_waitcnt lgkmcnt(1)                               // lgkmcnt=0 vmcnt=-1wait for prior local read local write old=0, new=1 newLW=0 newLR=1
v_add_f64 v[120:121], -v[vgprValuA_X1_I0+0+0+0+2:vgprValuA_X1_I0+0+0+0+2+1], 0 // Ai=-Ai
v_mfma_f64_16x16x4_f64 a[0+0:7+0], v[vgprValuB_X1_I0+0+0+0:vgprValuB_X1_I0+0+0+0+1], v[vgprValuA_X1_I0+0+0+0:vgprValuA_X1_I0+0+0+0+1], a[0:7]
 // Cr += Ar*Br
/*  mfmaIndex:49  */
_ds_load_b128 v[vgprValuB_X0_I0+0:vgprValuB_X0_I0+0+3], v[vgprLocalReadAddrB] offset:16384 // L -> Reg lro=1024 swapByteOffset=0 ti=32 vIdx=0 rIdx=0 oIdx=0 buffer=0 iui=0
v_mfma_f64_16x16x4_f64 a[96+0:103+0], v[vgprValuB_X1_I0+0+0+0:vgprValuB_X1_I0+0+0+0+1], v[vgprValuA_X1_I0+0+0+0+2:vgprValuA_X1_I0+0+0+0+2+1], a[96:103]
 // Ci += Ai*Br
/*  mfmaIndex:50  */
_ds_load_b128 v[vgprValuA_X0_I0+4:vgprValuA_X0_I0+4+3], v[vgprLocalReadAddrA] offset:9344 // L -> Reg lro=8 swapByteOffset=0 ti=32 vIdx=1 rIdx=0 oIdx=0 buffer=0 iui=0
v_mfma_f64_16x16x4_f64 a[0+0:7+0], v[vgprValuB_X1_I0+0+0+0+2:vgprValuB_X1_I0+0+0+0+2+1], v[120:121], a[0:7]
 // Cr += -Ai*Bi
/*  mfmaIndex:51  */
_ds_load_b128 v[vgprValuA_X0_I0+8:vgprValuA_X0_I0+8+3], v[vgprLocalReadAddrA] offset:18560 // L -> Reg lro=8 swapByteOffset=0 ti=32 vIdx=2 rIdx=0 oIdx=0 buffer=0 iui=0
v_mfma_f64_16x16x4_f64 a[96+0:103+0], v[vgprValuB_X1_I0+0+0+0+2:vgprValuB_X1_I0+0+0+0+2+1], v[vgprValuA_X1_I0+0+0+0:vgprValuA_X1_I0+0+0+0+1], a[96:103]
 // Ci += Ar*Bi
/*  mfmaIndex:52  */
_ds_load_b128 v[vgprValuB_X0_I0+4:vgprValuB_X0_I0+4+3], v[vgprLocalReadAddrB] offset:16896 // L -> Reg lro=1024 swapByteOffset=0 ti=32 vIdx=1 rIdx=0 oIdx=0 buffer=0 iui=0
v_mfma_f64_16x16x4_f64 a[24+0:31+0], v[vgprValuB_X1_I0+4+0+0:vgprValuB_X1_I0+4+0+0+1], v[vgprValuA_X1_I0+0+0+0:vgprValuA_X1_I0+0+0+0+1], a[24:31]
 // Cr += Ar*Br
/*  mfmaIndex:53  */
_ds_load_b128 v[vgprValuB_X0_I0+8:vgprValuB_X0_I0+8+3], v[vgprLocalReadAddrB] offset:17408 // L -> Reg lro=1024 swapByteOffset=0 ti=32 vIdx=2 rIdx=0 oIdx=0 buffer=0 iui=0
v_mfma_f64_16x16x4_f64 a[120+0:127+0], v[vgprValuB_X1_I0+4+0+0:vgprValuB_X1_I0+4+0+0+1], v[vgprValuA_X1_I0+0+0+0+2:vgprValuA_X1_I0+0+0+0+2+1], a[120:127]
 // Ci += Ai*Br
/*  mfmaIndex:54  */
_ds_load_b128 v[vgprValuB_X0_I0+12:vgprValuB_X0_I0+12+3], v[vgprLocalReadAddrB] offset:17920 // L -> Reg lro=1024 swapByteOffset=0 ti=32 vIdx=3 rIdx=0 oIdx=0 buffer=0 iui=0
/* localReadsVacancy: latencyLeft 1 */
v_mfma_f64_16x16x4_f64 a[24+0:31+0], v[vgprValuB_X1_I0+4+0+0+2:vgprValuB_X1_I0+4+0+0+2+1], v[120:121], a[24:31]
 // Cr += -Ai*Bi
/*  mfmaIndex:55  */
/* localReadsVacancy: latencyLeft 5 */
v_mfma_f64_16x16x4_f64 a[120+0:127+0], v[vgprValuB_X1_I0+4+0+0+2:vgprValuB_X1_I0+4+0+0+2+1], v[vgprValuA_X1_I0+0+0+0:vgprValuA_X1_I0+0+0+0+1], a[120:127]
 // Ci += Ar*Bi
/*  mfmaIndex:56  */
/* localReadsVacancy: latencyLeft 5 */
v_mfma_f64_16x16x4_f64 a[48+0:55+0], v[vgprValuB_X1_I0+8+0+0:vgprValuB_X1_I0+8+0+0+1], v[vgprValuA_X1_I0+0+0+0:vgprValuA_X1_I0+0+0+0+1], a[48:55]
 // Cr += Ar*Br
/*  mfmaIndex:57  */
/* localReadsVacancy: latencyLeft 5 */
v_mfma_f64_16x16x4_f64 a[144+0:151+0], v[vgprValuB_X1_I0+8+0+0:vgprValuB_X1_I0+8+0+0+1], v[vgprValuA_X1_I0+0+0+0+2:vgprValuA_X1_I0+0+0+0+2+1], a[144:151]
 // Ci += Ai*Br
/*  mfmaIndex:58  */
/* localReadsVacancy: latencyLeft 5 */
v_mfma_f64_16x16x4_f64 a[48+0:55+0], v[vgprValuB_X1_I0+8+0+0+2:vgprValuB_X1_I0+8+0+0+2+1], v[120:121], a[48:55]
 // Cr += -Ai*Bi
/*  mfmaIndex:59  */
/* localReadsVacancy: latencyLeft 5 */
v_mfma_f64_16x16x4_f64 a[144+0:151+0], v[vgprValuB_X1_I0+8+0+0+2:vgprValuB_X1_I0+8+0+0+2+1], v[vgprValuA_X1_I0+0+0+0:vgprValuA_X1_I0+0+0+0+1], a[144:151]
 // Ci += Ar*Bi
/*  mfmaIndex:60  */
/* localReadsVacancy: latencyLeft 5 */
v_mfma_f64_16x16x4_f64 a[72+0:79+0], v[vgprValuB_X1_I0+12+0+0:vgprValuB_X1_I0+12+0+0+1], v[vgprValuA_X1_I0+0+0+0:vgprValuA_X1_I0+0+0+0+1], a[72:79]
 // Cr += Ar*Br
/*  mfmaIndex:61  */
/* localReadsVacancy: latencyLeft 5 */
v_mfma_f64_16x16x4_f64 a[168+0:175+0], v[vgprValuB_X1_I0+12+0+0:vgprValuB_X1_I0+12+0+0+1], v[vgprValuA_X1_I0+0+0+0+2:vgprValuA_X1_I0+0+0+0+2+1], a[168:175]
 // Ci += Ai*Br
/*  mfmaIndex:62  */
/* localReadsVacancy: latencyLeft 5 */
v_mfma_f64_16x16x4_f64 a[72+0:79+0], v[vgprValuB_X1_I0+12+0+0+2:vgprValuB_X1_I0+12+0+0+2+1], v[120:121], a[72:79]
 // Cr += -Ai*Bi
/*  mfmaIndex:63  */
/* localReadsVacancy: latencyLeft 5 */
v_mfma_f64_16x16x4_f64 a[168+0:175+0], v[vgprValuB_X1_I0+12+0+0+2:vgprValuB_X1_I0+12+0+0+2+1], v[vgprValuA_X1_I0+0+0+0:vgprValuA_X1_I0+0+0+0+1], a[168:175]
 // Ci += Ar*Bi
/*  mfmaIndex:64  */
/* localReadsVacancy: latencyLeft 5 */
v_add_f64 v[120:121], -v[vgprValuA_X1_I0+4+0+0+2:vgprValuA_X1_I0+4+0+0+2+1], 0 // Ai=-Ai
v_mfma_f64_16x16x4_f64 a[8+0:15+0], v[vgprValuB_X1_I0+0+0+0:vgprValuB_X1_I0+0+0+0+1], v[vgprValuA_X1_I0+4+0+0:vgprValuA_X1_I0+4+0+0+1], a[8:15]
 // Cr += Ar*Br
/*  mfmaIndex:65  */
/* localReadsVacancy: latencyLeft 5 */
v_mfma_f64_16x16x4_f64 a[104+0:111+0], v[vgprValuB_X1_I0+0+0+0:vgprValuB_X1_I0+0+0+0+1], v[vgprValuA_X1_I0+4+0+0+2:vgprValuA_X1_I0+4+0+0+2+1], a[104:111]
 // Ci += Ai*Br
/*  mfmaIndex:66  */
/* localReadsVacancy: latencyLeft 5 */
v_mfma_f64_16x16x4_f64 a[8+0:15+0], v[vgprValuB_X1_I0+0+0+0+2:vgprValuB_X1_I0+0+0+0+2+1], v[120:121], a[8:15]
 // Cr += -Ai*Bi
/*  mfmaIndex:67  */
/* localReadsVacancy: latencyLeft 5 */
v_mfma_f64_16x16x4_f64 a[104+0:111+0], v[vgprValuB_X1_I0+0+0+0+2:vgprValuB_X1_I0+0+0+0+2+1], v[vgprValuA_X1_I0+4+0+0:vgprValuA_X1_I0+4+0+0+1], a[104:111]
 // Ci += Ar*Bi
/*  mfmaIndex:68  */
/* localReadsVacancy: latencyLeft 5 */
v_mfma_f64_16x16x4_f64 a[32+0:39+0], v[vgprValuB_X1_I0+4+0+0:vgprValuB_X1_I0+4+0+0+1], v[vgprValuA_X1_I0+4+0+0:vgprValuA_X1_I0+4+0+0+1], a[32:39]
 // Cr += Ar*Br
/*  mfmaIndex:69  */
/* localReadsVacancy: latencyLeft 5 */
v_mfma_f64_16x16x4_f64 a[128+0:135+0], v[vgprValuB_X1_I0+4+0+0:vgprValuB_X1_I0+4+0+0+1], v[vgprValuA_X1_I0+4+0+0+2:vgprValuA_X1_I0+4+0+0+2+1], a[128:135]
 // Ci += Ai*Br
/*  mfmaIndex:70  */
/* localReadsVacancy: latencyLeft 5 */
v_mfma_f64_16x16x4_f64 a[32+0:39+0], v[vgprValuB_X1_I0+4+0+0+2:vgprValuB_X1_I0+4+0+0+2+1], v[120:121], a[32:39]
 // Cr += -Ai*Bi
/*  mfmaIndex:71  */
/* localReadsVacancy: latencyLeft 5 */
v_mfma_f64_16x16x4_f64 a[128+0:135+0], v[vgprValuB_X1_I0+4+0+0+2:vgprValuB_X1_I0+4+0+0+2+1], v[vgprValuA_X1_I0+4+0+0:vgprValuA_X1_I0+4+0+0+1], a[128:135]
 // Ci += Ar*Bi
/*  mfmaIndex:72  */
/* localReadsVacancy: latencyLeft 5 */
	;; [unrolled: 16-line block ×4, first 2 shown]
v_add_f64 v[120:121], -v[vgprValuA_X1_I0+8+0+0+2:vgprValuA_X1_I0+8+0+0+2+1], 0 // Ai=-Ai
v_mfma_f64_16x16x4_f64 a[16+0:23+0], v[vgprValuB_X1_I0+0+0+0:vgprValuB_X1_I0+0+0+0+1], v[vgprValuA_X1_I0+8+0+0:vgprValuA_X1_I0+8+0+0+1], a[16:23]
 // Cr += Ar*Br
/*  mfmaIndex:81  */
/* localReadsVacancy: latencyLeft 5 */
v_mfma_f64_16x16x4_f64 a[112+0:119+0], v[vgprValuB_X1_I0+0+0+0:vgprValuB_X1_I0+0+0+0+1], v[vgprValuA_X1_I0+8+0+0+2:vgprValuA_X1_I0+8+0+0+2+1], a[112:119]
 // Ci += Ai*Br
/*  mfmaIndex:82  */
/* localReadsVacancy: latencyLeft 5 */
v_mfma_f64_16x16x4_f64 a[16+0:23+0], v[vgprValuB_X1_I0+0+0+0+2:vgprValuB_X1_I0+0+0+0+2+1], v[120:121], a[16:23]
 // Cr += -Ai*Bi
/*  mfmaIndex:83  */
/* localReadsVacancy: latencyLeft 5 */
v_mfma_f64_16x16x4_f64 a[112+0:119+0], v[vgprValuB_X1_I0+0+0+0+2:vgprValuB_X1_I0+0+0+0+2+1], v[vgprValuA_X1_I0+8+0+0:vgprValuA_X1_I0+8+0+0+1], a[112:119]
 // Ci += Ar*Bi
/*  mfmaIndex:84  */
/* localReadsVacancy: latencyLeft 5 */
v_mfma_f64_16x16x4_f64 a[40+0:47+0], v[vgprValuB_X1_I0+4+0+0:vgprValuB_X1_I0+4+0+0+1], v[vgprValuA_X1_I0+8+0+0:vgprValuA_X1_I0+8+0+0+1], a[40:47]
 // Cr += Ar*Br
/*  mfmaIndex:85  */
/* localReadsVacancy: latencyLeft 5 */
v_mfma_f64_16x16x4_f64 a[136+0:143+0], v[vgprValuB_X1_I0+4+0+0:vgprValuB_X1_I0+4+0+0+1], v[vgprValuA_X1_I0+8+0+0+2:vgprValuA_X1_I0+8+0+0+2+1], a[136:143]
 // Ci += Ai*Br
/*  mfmaIndex:86  */
/* localReadsVacancy: latencyLeft 5 */
v_mfma_f64_16x16x4_f64 a[40+0:47+0], v[vgprValuB_X1_I0+4+0+0+2:vgprValuB_X1_I0+4+0+0+2+1], v[120:121], a[40:47]
 // Cr += -Ai*Bi
/*  mfmaIndex:87  */
/* localReadsVacancy: latencyLeft 5 */
v_mfma_f64_16x16x4_f64 a[136+0:143+0], v[vgprValuB_X1_I0+4+0+0+2:vgprValuB_X1_I0+4+0+0+2+1], v[vgprValuA_X1_I0+8+0+0:vgprValuA_X1_I0+8+0+0+1], a[136:143]
 // Ci += Ar*Bi
/*  mfmaIndex:88  */
/* localReadsVacancy: latencyLeft 5 */
	;; [unrolled: 16-line block ×3, first 2 shown]
v_mfma_f64_16x16x4_f64 a[88+0:95+0], v[vgprValuB_X1_I0+12+0+0:vgprValuB_X1_I0+12+0+0+1], v[vgprValuA_X1_I0+8+0+0:vgprValuA_X1_I0+8+0+0+1], a[88:95]
 // Cr += Ar*Br
/*  mfmaIndex:93  */
/* localReadsVacancy: latencyLeft 5 */
v_mfma_f64_16x16x4_f64 a[184+0:191+0], v[vgprValuB_X1_I0+12+0+0:vgprValuB_X1_I0+12+0+0+1], v[vgprValuA_X1_I0+8+0+0+2:vgprValuA_X1_I0+8+0+0+2+1], a[184:191]
 // Ci += Ai*Br
/*  mfmaIndex:94  */
/* localReadsVacancy: latencyLeft 5 */
v_mfma_f64_16x16x4_f64 a[88+0:95+0], v[vgprValuB_X1_I0+12+0+0+2:vgprValuB_X1_I0+12+0+0+2+1], v[120:121], a[88:95]
 // Cr += -Ai*Bi
/*  mfmaIndex:95  */
/* localReadsVacancy: latencyLeft 5 */
v_mfma_f64_16x16x4_f64 a[184+0:191+0], v[vgprValuB_X1_I0+12+0+0+2:vgprValuB_X1_I0+12+0+0+2+1], v[vgprValuA_X1_I0+8+0+0:vgprValuA_X1_I0+8+0+0+1], a[184:191]
 // Ci += Ar*Bi
/* numPrefetchIter=0 */
/* dataAtIterA=0 numReadsIterA=2 skipReadsIterA=1 readsPerIterA=3 */
/* dataAtIterB=0 numReadsIterB=2 skipReadsIterB=1 readsPerIterB=4 */


/* iter 2 (reset local read pointers iteration)  (swap local read pointers iteration)  */

/*  grEndMfmaIndex:6, lwStartMfmaIndex:109, lwEndMfmaIndex:178  */
/*  numMfmaForLR:11, barrierMfmaIndex:180, LocalWritePerMfma:0.190 */
/*  mfmaIndex:96  */
_ds_load_b128 v[vgprValuA_X1_I0+0:vgprValuA_X1_I0+0+3], v[vgprLocalReadAddrA] offset:192 // L -> Reg lro=12 swapByteOffset=0 ti=32 vIdx=0 rIdx=0 oIdx=0 buffer=1 iui=0
s_waitcnt lgkmcnt(1)                               // lgkmcnt=0 vmcnt=-1wait for prior local read local write old=0, new=1 newLW=0 newLR=1
v_add_f64 v[120:121], -v[vgprValuA_X0_I0+0+0+0+2:vgprValuA_X0_I0+0+0+0+2+1], 0 // Ai=-Ai
v_mfma_f64_16x16x4_f64 a[0+0:7+0], v[vgprValuB_X0_I0+0+0+0:vgprValuB_X0_I0+0+0+0+1], v[vgprValuA_X0_I0+0+0+0:vgprValuA_X0_I0+0+0+0+1], a[0:7]
 // Cr += Ar*Br
/*  mfmaIndex:97  */
_ds_load_b128 v[vgprValuB_X1_I0+0:vgprValuB_X1_I0+0+3], v[vgprLocalReadAddrB] offset:24576 // L -> Reg lro=1536 swapByteOffset=0 ti=32 vIdx=0 rIdx=0 oIdx=0 buffer=1 iui=0
v_mfma_f64_16x16x4_f64 a[96+0:103+0], v[vgprValuB_X0_I0+0+0+0:vgprValuB_X0_I0+0+0+0+1], v[vgprValuA_X0_I0+0+0+0+2:vgprValuA_X0_I0+0+0+0+2+1], a[96:103]
 // Ci += Ai*Br
/*  mfmaIndex:98  */
_ds_load_b128 v[vgprValuA_X1_I0+4:vgprValuA_X1_I0+4+3], v[vgprLocalReadAddrA] offset:9408 // L -> Reg lro=12 swapByteOffset=0 ti=32 vIdx=1 rIdx=0 oIdx=0 buffer=1 iui=0
v_mfma_f64_16x16x4_f64 a[0+0:7+0], v[vgprValuB_X0_I0+0+0+0+2:vgprValuB_X0_I0+0+0+0+2+1], v[120:121], a[0:7]
 // Cr += -Ai*Bi
/*  mfmaIndex:99  */
_ds_load_b128 v[vgprValuA_X1_I0+8:vgprValuA_X1_I0+8+3], v[vgprLocalReadAddrA] offset:18624 // L -> Reg lro=12 swapByteOffset=0 ti=32 vIdx=2 rIdx=0 oIdx=0 buffer=1 iui=0
v_mfma_f64_16x16x4_f64 a[96+0:103+0], v[vgprValuB_X0_I0+0+0+0+2:vgprValuB_X0_I0+0+0+0+2+1], v[vgprValuA_X0_I0+0+0+0:vgprValuA_X0_I0+0+0+0+1], a[96:103]
 // Ci += Ar*Bi
/*  mfmaIndex:100  */
_ds_load_b128 v[vgprValuB_X1_I0+4:vgprValuB_X1_I0+4+3], v[vgprLocalReadAddrB] offset:25088 // L -> Reg lro=1536 swapByteOffset=0 ti=32 vIdx=1 rIdx=0 oIdx=0 buffer=1 iui=0
v_mfma_f64_16x16x4_f64 a[24+0:31+0], v[vgprValuB_X0_I0+4+0+0:vgprValuB_X0_I0+4+0+0+1], v[vgprValuA_X0_I0+0+0+0:vgprValuA_X0_I0+0+0+0+1], a[24:31]
 // Cr += Ar*Br
/*  mfmaIndex:101  */
_ds_load_b128 v[vgprValuB_X1_I0+8:vgprValuB_X1_I0+8+3], v[vgprLocalReadAddrB] offset:25600 // L -> Reg lro=1536 swapByteOffset=0 ti=32 vIdx=2 rIdx=0 oIdx=0 buffer=1 iui=0
v_mfma_f64_16x16x4_f64 a[120+0:127+0], v[vgprValuB_X0_I0+4+0+0:vgprValuB_X0_I0+4+0+0+1], v[vgprValuA_X0_I0+0+0+0+2:vgprValuA_X0_I0+0+0+0+2+1], a[120:127]
 // Ci += Ai*Br
/*  mfmaIndex:102  */
_ds_load_b128 v[vgprValuB_X1_I0+12:vgprValuB_X1_I0+12+3], v[vgprLocalReadAddrB] offset:26112 // L -> Reg lro=1536 swapByteOffset=0 ti=32 vIdx=3 rIdx=0 oIdx=0 buffer=1 iui=0
/* localReadsVacancy: latencyLeft 1 */
v_mfma_f64_16x16x4_f64 a[24+0:31+0], v[vgprValuB_X0_I0+4+0+0+2:vgprValuB_X0_I0+4+0+0+2+1], v[120:121], a[24:31]
 // Cr += -Ai*Bi
/*  mfmaIndex:103  */
/* localReadsVacancy: latencyLeft 5 */
v_mfma_f64_16x16x4_f64 a[120+0:127+0], v[vgprValuB_X0_I0+4+0+0+2:vgprValuB_X0_I0+4+0+0+2+1], v[vgprValuA_X0_I0+0+0+0:vgprValuA_X0_I0+0+0+0+1], a[120:127]
 // Ci += Ar*Bi
/*  mfmaIndex:104  */
/* localReadsVacancy: latencyLeft 5 */
v_mfma_f64_16x16x4_f64 a[48+0:55+0], v[vgprValuB_X0_I0+8+0+0:vgprValuB_X0_I0+8+0+0+1], v[vgprValuA_X0_I0+0+0+0:vgprValuA_X0_I0+0+0+0+1], a[48:55]
 // Cr += Ar*Br
/*  mfmaIndex:105  */
/* localReadsVacancy: latencyLeft 5 */
v_mfma_f64_16x16x4_f64 a[144+0:151+0], v[vgprValuB_X0_I0+8+0+0:vgprValuB_X0_I0+8+0+0+1], v[vgprValuA_X0_I0+0+0+0+2:vgprValuA_X0_I0+0+0+0+2+1], a[144:151]
 // Ci += Ai*Br
/*  mfmaIndex:106  */
/* localReadsVacancy: latencyLeft 5 */
v_mfma_f64_16x16x4_f64 a[48+0:55+0], v[vgprValuB_X0_I0+8+0+0+2:vgprValuB_X0_I0+8+0+0+2+1], v[120:121], a[48:55]
 // Cr += -Ai*Bi
/*  mfmaIndex:107  */
/* localReadsVacancy: latencyLeft 5 */
v_mfma_f64_16x16x4_f64 a[144+0:151+0], v[vgprValuB_X0_I0+8+0+0+2:vgprValuB_X0_I0+8+0+0+2+1], v[vgprValuA_X0_I0+0+0+0:vgprValuA_X0_I0+0+0+0+1], a[144:151]
 // Ci += Ar*Bi
/*  mfmaIndex:108  */
/* localReadsVacancy: latencyLeft 5 */
/* 1 LDS buffer: read-sync-write */
s_waitcnt lgkmcnt(0)                               // 
s_barrier                                          // 
v_mfma_f64_16x16x4_f64 a[72+0:79+0], v[vgprValuB_X0_I0+12+0+0:vgprValuB_X0_I0+12+0+0+1], v[vgprValuA_X0_I0+0+0+0:vgprValuA_X0_I0+0+0+0+1], a[72:79]
 // Cr += Ar*Br
/*  mfmaIndex:109  */
s_setprio 3                                        // store optimization
/* sched write - iter 2 writesPerItem=1 */
s_waitcnt vmcnt(0)                                 // lgkmcnt=-1 vmcnt=0wait for global read before writing to local
_ds_store_b128 v[vgprLocalWriteAddrA], v[vgprG2LA+0:vgprG2LA+0+3] offset:0 // lwoA_0_0_0_0 = (0*LSCA)*(MT0I+PAD) + (0*LSPA) = 0
v_mfma_f64_16x16x4_f64 a[168+0:175+0], v[vgprValuB_X0_I0+12+0+0:vgprValuB_X0_I0+12+0+0+1], v[vgprValuA_X0_I0+0+0+0+2:vgprValuA_X0_I0+0+0+0+2+1], a[168:175]
 // Ci += Ai*Br
/*  mfmaIndex:110  */
v_mfma_f64_16x16x4_f64 a[72+0:79+0], v[vgprValuB_X0_I0+12+0+0+2:vgprValuB_X0_I0+12+0+0+2+1], v[120:121], a[72:79]
 // Cr += -Ai*Bi
/*  mfmaIndex:111  */
v_mfma_f64_16x16x4_f64 a[168+0:175+0], v[vgprValuB_X0_I0+12+0+0+2:vgprValuB_X0_I0+12+0+0+2+1], v[vgprValuA_X0_I0+0+0+0:vgprValuA_X0_I0+0+0+0+1], a[168:175]
 // Ci += Ar*Bi
/*  mfmaIndex:112  */
v_add_f64 v[120:121], -v[vgprValuA_X0_I0+4+0+0+2:vgprValuA_X0_I0+4+0+0+2+1], 0 // Ai=-Ai
v_mfma_f64_16x16x4_f64 a[8+0:15+0], v[vgprValuB_X0_I0+0+0+0:vgprValuB_X0_I0+0+0+0+1], v[vgprValuA_X0_I0+4+0+0:vgprValuA_X0_I0+4+0+0+1], a[8:15]
 // Cr += Ar*Br
/*  mfmaIndex:113  */
v_mfma_f64_16x16x4_f64 a[104+0:111+0], v[vgprValuB_X0_I0+0+0+0:vgprValuB_X0_I0+0+0+0+1], v[vgprValuA_X0_I0+4+0+0+2:vgprValuA_X0_I0+4+0+0+2+1], a[104:111]
 // Ci += Ai*Br
/*  mfmaIndex:114  */
/* sched write - iter 2 writesPerItem=1 */
s_waitcnt vmcnt(0)                                 // lgkmcnt=-1 vmcnt=0wait for global read before writing to local
_ds_store_b128 v[vgprLocalWriteAddrA], v[vgprG2LA+4:vgprG2LA+4+3] offset:4608 // lwoA_0_0_1_0 = (0*LSCA)*(MT0I+PAD) + (1*LSPA) = 4608
v_mfma_f64_16x16x4_f64 a[8+0:15+0], v[vgprValuB_X0_I0+0+0+0+2:vgprValuB_X0_I0+0+0+0+2+1], v[120:121], a[8:15]
 // Cr += -Ai*Bi
/*  mfmaIndex:115  */
v_mfma_f64_16x16x4_f64 a[104+0:111+0], v[vgprValuB_X0_I0+0+0+0+2:vgprValuB_X0_I0+0+0+0+2+1], v[vgprValuA_X0_I0+4+0+0:vgprValuA_X0_I0+4+0+0+1], a[104:111]
 // Ci += Ar*Bi
/*  mfmaIndex:116  */
v_mfma_f64_16x16x4_f64 a[32+0:39+0], v[vgprValuB_X0_I0+4+0+0:vgprValuB_X0_I0+4+0+0+1], v[vgprValuA_X0_I0+4+0+0:vgprValuA_X0_I0+4+0+0+1], a[32:39]
 // Cr += Ar*Br
/*  mfmaIndex:117  */
v_mfma_f64_16x16x4_f64 a[128+0:135+0], v[vgprValuB_X0_I0+4+0+0:vgprValuB_X0_I0+4+0+0+1], v[vgprValuA_X0_I0+4+0+0+2:vgprValuA_X0_I0+4+0+0+2+1], a[128:135]
 // Ci += Ai*Br
/*  mfmaIndex:118  */
v_mfma_f64_16x16x4_f64 a[32+0:39+0], v[vgprValuB_X0_I0+4+0+0+2:vgprValuB_X0_I0+4+0+0+2+1], v[120:121], a[32:39]
 // Cr += -Ai*Bi
/*  mfmaIndex:119  */
/* sched write - iter 2 writesPerItem=1 */
s_waitcnt vmcnt(0)                                 // lgkmcnt=-1 vmcnt=0wait for global read before writing to local
_ds_store_b128 v[vgprLocalWriteAddrA], v[vgprG2LA+8:vgprG2LA+8+3] offset:9216 // lwoA_0_0_2_0 = (0*LSCA)*(MT0I+PAD) + (2*LSPA) = 9216
v_mfma_f64_16x16x4_f64 a[128+0:135+0], v[vgprValuB_X0_I0+4+0+0+2:vgprValuB_X0_I0+4+0+0+2+1], v[vgprValuA_X0_I0+4+0+0:vgprValuA_X0_I0+4+0+0+1], a[128:135]
 // Ci += Ar*Bi
/*  mfmaIndex:120  */
v_mfma_f64_16x16x4_f64 a[56+0:63+0], v[vgprValuB_X0_I0+8+0+0:vgprValuB_X0_I0+8+0+0+1], v[vgprValuA_X0_I0+4+0+0:vgprValuA_X0_I0+4+0+0+1], a[56:63]
 // Cr += Ar*Br
/*  mfmaIndex:121  */
v_mfma_f64_16x16x4_f64 a[152+0:159+0], v[vgprValuB_X0_I0+8+0+0:vgprValuB_X0_I0+8+0+0+1], v[vgprValuA_X0_I0+4+0+0+2:vgprValuA_X0_I0+4+0+0+2+1], a[152:159]
 // Ci += Ai*Br
/*  mfmaIndex:122  */
v_mfma_f64_16x16x4_f64 a[56+0:63+0], v[vgprValuB_X0_I0+8+0+0+2:vgprValuB_X0_I0+8+0+0+2+1], v[120:121], a[56:63]
 // Cr += -Ai*Bi
/*  mfmaIndex:123  */
v_mfma_f64_16x16x4_f64 a[152+0:159+0], v[vgprValuB_X0_I0+8+0+0+2:vgprValuB_X0_I0+8+0+0+2+1], v[vgprValuA_X0_I0+4+0+0:vgprValuA_X0_I0+4+0+0+1], a[152:159]
 // Ci += Ar*Bi
/*  mfmaIndex:124  */
/* sched write - iter 2 writesPerItem=1 */
s_waitcnt vmcnt(0)                                 // lgkmcnt=-1 vmcnt=0wait for global read before writing to local
_ds_store_b128 v[vgprLocalWriteAddrA], v[vgprG2LA+12:vgprG2LA+12+3] offset:13824 // lwoA_0_0_3_0 = (0*LSCA)*(MT0I+PAD) + (3*LSPA) = 13824
v_mfma_f64_16x16x4_f64 a[80+0:87+0], v[vgprValuB_X0_I0+12+0+0:vgprValuB_X0_I0+12+0+0+1], v[vgprValuA_X0_I0+4+0+0:vgprValuA_X0_I0+4+0+0+1], a[80:87]
 // Cr += Ar*Br
/*  mfmaIndex:125  */
v_mfma_f64_16x16x4_f64 a[176+0:183+0], v[vgprValuB_X0_I0+12+0+0:vgprValuB_X0_I0+12+0+0+1], v[vgprValuA_X0_I0+4+0+0+2:vgprValuA_X0_I0+4+0+0+2+1], a[176:183]
 // Ci += Ai*Br
/*  mfmaIndex:126  */
v_mfma_f64_16x16x4_f64 a[80+0:87+0], v[vgprValuB_X0_I0+12+0+0+2:vgprValuB_X0_I0+12+0+0+2+1], v[120:121], a[80:87]
 // Cr += -Ai*Bi
/*  mfmaIndex:127  */
v_mfma_f64_16x16x4_f64 a[176+0:183+0], v[vgprValuB_X0_I0+12+0+0+2:vgprValuB_X0_I0+12+0+0+2+1], v[vgprValuA_X0_I0+4+0+0:vgprValuA_X0_I0+4+0+0+1], a[176:183]
 // Ci += Ar*Bi
/*  mfmaIndex:128  */
v_add_f64 v[120:121], -v[vgprValuA_X0_I0+8+0+0+2:vgprValuA_X0_I0+8+0+0+2+1], 0 // Ai=-Ai
v_mfma_f64_16x16x4_f64 a[16+0:23+0], v[vgprValuB_X0_I0+0+0+0:vgprValuB_X0_I0+0+0+0+1], v[vgprValuA_X0_I0+8+0+0:vgprValuA_X0_I0+8+0+0+1], a[16:23]
 // Cr += Ar*Br
/*  mfmaIndex:129  */
v_mfma_f64_16x16x4_f64 a[112+0:119+0], v[vgprValuB_X0_I0+0+0+0:vgprValuB_X0_I0+0+0+0+1], v[vgprValuA_X0_I0+8+0+0+2:vgprValuA_X0_I0+8+0+0+2+1], a[112:119]
 // Ci += Ai*Br
/*  mfmaIndex:130  */
/* sched write - iter 2 writesPerItem=1 */
s_waitcnt vmcnt(0)                                 // lgkmcnt=-1 vmcnt=0wait for global read before writing to local
_ds_store_b128 v[vgprLocalWriteAddrA], v[vgprG2LA+16:vgprG2LA+16+3] offset:18432 // lwoA_0_0_4_0 = (0*LSCA)*(MT0I+PAD) + (4*LSPA) = 18432
v_mfma_f64_16x16x4_f64 a[16+0:23+0], v[vgprValuB_X0_I0+0+0+0+2:vgprValuB_X0_I0+0+0+0+2+1], v[120:121], a[16:23]
 // Cr += -Ai*Bi
/*  mfmaIndex:131  */
v_mfma_f64_16x16x4_f64 a[112+0:119+0], v[vgprValuB_X0_I0+0+0+0+2:vgprValuB_X0_I0+0+0+0+2+1], v[vgprValuA_X0_I0+8+0+0:vgprValuA_X0_I0+8+0+0+1], a[112:119]
 // Ci += Ar*Bi
/*  mfmaIndex:132  */
v_mfma_f64_16x16x4_f64 a[40+0:47+0], v[vgprValuB_X0_I0+4+0+0:vgprValuB_X0_I0+4+0+0+1], v[vgprValuA_X0_I0+8+0+0:vgprValuA_X0_I0+8+0+0+1], a[40:47]
 // Cr += Ar*Br
/*  mfmaIndex:133  */
v_mfma_f64_16x16x4_f64 a[136+0:143+0], v[vgprValuB_X0_I0+4+0+0:vgprValuB_X0_I0+4+0+0+1], v[vgprValuA_X0_I0+8+0+0+2:vgprValuA_X0_I0+8+0+0+2+1], a[136:143]
 // Ci += Ai*Br
/*  mfmaIndex:134  */
v_mfma_f64_16x16x4_f64 a[40+0:47+0], v[vgprValuB_X0_I0+4+0+0+2:vgprValuB_X0_I0+4+0+0+2+1], v[120:121], a[40:47]
 // Cr += -Ai*Bi
/*  mfmaIndex:135  */
/* sched write - iter 2 writesPerItem=1 */
s_waitcnt vmcnt(0)                                 // lgkmcnt=-1 vmcnt=0wait for global read before writing to local
_ds_store_b128 v[vgprLocalWriteAddrA], v[vgprG2LA+20:vgprG2LA+20+3] offset:23040 // lwoA_0_0_5_0 = (0*LSCA)*(MT0I+PAD) + (5*LSPA) = 23040
v_mfma_f64_16x16x4_f64 a[136+0:143+0], v[vgprValuB_X0_I0+4+0+0+2:vgprValuB_X0_I0+4+0+0+2+1], v[vgprValuA_X0_I0+8+0+0:vgprValuA_X0_I0+8+0+0+1], a[136:143]
 // Ci += Ar*Bi
/*  mfmaIndex:136  */
v_mfma_f64_16x16x4_f64 a[64+0:71+0], v[vgprValuB_X0_I0+8+0+0:vgprValuB_X0_I0+8+0+0+1], v[vgprValuA_X0_I0+8+0+0:vgprValuA_X0_I0+8+0+0+1], a[64:71]
 // Cr += Ar*Br
/*  mfmaIndex:137  */
v_mfma_f64_16x16x4_f64 a[160+0:167+0], v[vgprValuB_X0_I0+8+0+0:vgprValuB_X0_I0+8+0+0+1], v[vgprValuA_X0_I0+8+0+0+2:vgprValuA_X0_I0+8+0+0+2+1], a[160:167]
 // Ci += Ai*Br
/*  mfmaIndex:138  */
v_mfma_f64_16x16x4_f64 a[64+0:71+0], v[vgprValuB_X0_I0+8+0+0+2:vgprValuB_X0_I0+8+0+0+2+1], v[120:121], a[64:71]
 // Cr += -Ai*Bi
/*  mfmaIndex:139  */
v_mfma_f64_16x16x4_f64 a[160+0:167+0], v[vgprValuB_X0_I0+8+0+0+2:vgprValuB_X0_I0+8+0+0+2+1], v[vgprValuA_X0_I0+8+0+0:vgprValuA_X0_I0+8+0+0+1], a[160:167]
 // Ci += Ar*Bi
/*  mfmaIndex:140  */
/* sched write - iter 2 writesPerItem=1 */
s_waitcnt vmcnt(0)                                 // lgkmcnt=-1 vmcnt=0wait for global read before writing to local
_ds_store_b128 v[vgprLocalWriteAddrB], v[vgprG2LB+0:vgprG2LB+0+3] offset:0 // lwoB_0_0_0_0 = (0*LSCB) + (0*LSPB)(*MT1J+PAD) = 0
v_mfma_f64_16x16x4_f64 a[88+0:95+0], v[vgprValuB_X0_I0+12+0+0:vgprValuB_X0_I0+12+0+0+1], v[vgprValuA_X0_I0+8+0+0:vgprValuA_X0_I0+8+0+0+1], a[88:95]
 // Cr += Ar*Br
/*  mfmaIndex:141  */
v_mfma_f64_16x16x4_f64 a[184+0:191+0], v[vgprValuB_X0_I0+12+0+0:vgprValuB_X0_I0+12+0+0+1], v[vgprValuA_X0_I0+8+0+0+2:vgprValuA_X0_I0+8+0+0+2+1], a[184:191]
 // Ci += Ai*Br
/*  mfmaIndex:142  */
v_mfma_f64_16x16x4_f64 a[88+0:95+0], v[vgprValuB_X0_I0+12+0+0+2:vgprValuB_X0_I0+12+0+0+2+1], v[120:121], a[88:95]
 // Cr += -Ai*Bi
/*  mfmaIndex:143  */

/* local read swap offsets a */

/* local read swap offsets b */

/* local read init pointers a */

/* localReadInitPointers */

/* local read init pointers b */

/* localReadInitPointers */
v_mfma_f64_16x16x4_f64 a[184+0:191+0], v[vgprValuB_X0_I0+12+0+0+2:vgprValuB_X0_I0+12+0+0+2+1], v[vgprValuA_X0_I0+8+0+0:vgprValuA_X0_I0+8+0+0+1], a[184:191]
 // Ci += Ar*Bi
/* numPrefetchIter=0 */
/* dataAtIterA=1 numReadsIterA=3 skipReadsIterA=1 readsPerIterA=3 */
/* dataAtIterB=1 numReadsIterB=3 skipReadsIterB=1 readsPerIterB=4 */


/* iter 3 (swap and reset local write pointers iteration)  */

/*  grEndMfmaIndex:6, lwStartMfmaIndex:109, lwEndMfmaIndex:178  */
/*  numMfmaForLR:11, barrierMfmaIndex:180, LocalWritePerMfma:0.190 */
/*  mfmaIndex:144  */
s_waitcnt lgkmcnt(7)                               // lgkmcnt=0 vmcnt=-1wait for prior local read local write old=0, new=7 newLW=7 newLR=0
v_add_f64 v[120:121], -v[vgprValuA_X1_I0+0+0+0+2:vgprValuA_X1_I0+0+0+0+2+1], 0 // Ai=-Ai
v_mfma_f64_16x16x4_f64 a[0+0:7+0], v[vgprValuB_X1_I0+0+0+0:vgprValuB_X1_I0+0+0+0+1], v[vgprValuA_X1_I0+0+0+0:vgprValuA_X1_I0+0+0+0+1], a[0:7]
 // Cr += Ar*Br
/*  mfmaIndex:145  */
/* sched write - iter 3 writesPerItem=1 */
s_waitcnt vmcnt(0)                                 // lgkmcnt=-1 vmcnt=0wait for global read before writing to local
_ds_store_b128 v[vgprLocalWriteAddrB], v[vgprG2LB+4:vgprG2LB+4+3] offset:4096 // lwoB_0_0_1_0 = (0*LSCB) + (1*LSPB)(*MT1J+PAD) = 4096
v_mfma_f64_16x16x4_f64 a[96+0:103+0], v[vgprValuB_X1_I0+0+0+0:vgprValuB_X1_I0+0+0+0+1], v[vgprValuA_X1_I0+0+0+0+2:vgprValuA_X1_I0+0+0+0+2+1], a[96:103]
 // Ci += Ai*Br
/*  mfmaIndex:146  */
v_mfma_f64_16x16x4_f64 a[0+0:7+0], v[vgprValuB_X1_I0+0+0+0+2:vgprValuB_X1_I0+0+0+0+2+1], v[120:121], a[0:7]
 // Cr += -Ai*Bi
/*  mfmaIndex:147  */
v_mfma_f64_16x16x4_f64 a[96+0:103+0], v[vgprValuB_X1_I0+0+0+0+2:vgprValuB_X1_I0+0+0+0+2+1], v[vgprValuA_X1_I0+0+0+0:vgprValuA_X1_I0+0+0+0+1], a[96:103]
 // Ci += Ar*Bi
/*  mfmaIndex:148  */
v_mfma_f64_16x16x4_f64 a[24+0:31+0], v[vgprValuB_X1_I0+4+0+0:vgprValuB_X1_I0+4+0+0+1], v[vgprValuA_X1_I0+0+0+0:vgprValuA_X1_I0+0+0+0+1], a[24:31]
 // Cr += Ar*Br
/*  mfmaIndex:149  */
v_mfma_f64_16x16x4_f64 a[120+0:127+0], v[vgprValuB_X1_I0+4+0+0:vgprValuB_X1_I0+4+0+0+1], v[vgprValuA_X1_I0+0+0+0+2:vgprValuA_X1_I0+0+0+0+2+1], a[120:127]
 // Ci += Ai*Br
/*  mfmaIndex:150  */
v_mfma_f64_16x16x4_f64 a[24+0:31+0], v[vgprValuB_X1_I0+4+0+0+2:vgprValuB_X1_I0+4+0+0+2+1], v[120:121], a[24:31]
 // Cr += -Ai*Bi
/*  mfmaIndex:151  */
/* sched write - iter 3 writesPerItem=1 */
s_waitcnt vmcnt(0)                                 // lgkmcnt=-1 vmcnt=0wait for global read before writing to local
_ds_store_b128 v[vgprLocalWriteAddrB], v[vgprG2LB+8:vgprG2LB+8+3] offset:8192 // lwoB_0_0_2_0 = (0*LSCB) + (2*LSPB)(*MT1J+PAD) = 8192
v_mfma_f64_16x16x4_f64 a[120+0:127+0], v[vgprValuB_X1_I0+4+0+0+2:vgprValuB_X1_I0+4+0+0+2+1], v[vgprValuA_X1_I0+0+0+0:vgprValuA_X1_I0+0+0+0+1], a[120:127]
 // Ci += Ar*Bi
/*  mfmaIndex:152  */
v_mfma_f64_16x16x4_f64 a[48+0:55+0], v[vgprValuB_X1_I0+8+0+0:vgprValuB_X1_I0+8+0+0+1], v[vgprValuA_X1_I0+0+0+0:vgprValuA_X1_I0+0+0+0+1], a[48:55]
 // Cr += Ar*Br
/*  mfmaIndex:153  */
v_mfma_f64_16x16x4_f64 a[144+0:151+0], v[vgprValuB_X1_I0+8+0+0:vgprValuB_X1_I0+8+0+0+1], v[vgprValuA_X1_I0+0+0+0+2:vgprValuA_X1_I0+0+0+0+2+1], a[144:151]
 // Ci += Ai*Br
/*  mfmaIndex:154  */
v_mfma_f64_16x16x4_f64 a[48+0:55+0], v[vgprValuB_X1_I0+8+0+0+2:vgprValuB_X1_I0+8+0+0+2+1], v[120:121], a[48:55]
 // Cr += -Ai*Bi
/*  mfmaIndex:155  */
v_mfma_f64_16x16x4_f64 a[144+0:151+0], v[vgprValuB_X1_I0+8+0+0+2:vgprValuB_X1_I0+8+0+0+2+1], v[vgprValuA_X1_I0+0+0+0:vgprValuA_X1_I0+0+0+0+1], a[144:151]
 // Ci += Ar*Bi
/*  mfmaIndex:156  */
/* sched write - iter 3 writesPerItem=1 */
s_waitcnt vmcnt(0)                                 // lgkmcnt=-1 vmcnt=0wait for global read before writing to local
_ds_store_b128 v[vgprLocalWriteAddrB], v[vgprG2LB+12:vgprG2LB+12+3] offset:12288 // lwoB_0_0_3_0 = (0*LSCB) + (3*LSPB)(*MT1J+PAD) = 12288
v_mfma_f64_16x16x4_f64 a[72+0:79+0], v[vgprValuB_X1_I0+12+0+0:vgprValuB_X1_I0+12+0+0+1], v[vgprValuA_X1_I0+0+0+0:vgprValuA_X1_I0+0+0+0+1], a[72:79]
 // Cr += Ar*Br
/*  mfmaIndex:157  */
v_mfma_f64_16x16x4_f64 a[168+0:175+0], v[vgprValuB_X1_I0+12+0+0:vgprValuB_X1_I0+12+0+0+1], v[vgprValuA_X1_I0+0+0+0+2:vgprValuA_X1_I0+0+0+0+2+1], a[168:175]
 // Ci += Ai*Br
/*  mfmaIndex:158  */
v_mfma_f64_16x16x4_f64 a[72+0:79+0], v[vgprValuB_X1_I0+12+0+0+2:vgprValuB_X1_I0+12+0+0+2+1], v[120:121], a[72:79]
 // Cr += -Ai*Bi
/*  mfmaIndex:159  */
v_mfma_f64_16x16x4_f64 a[168+0:175+0], v[vgprValuB_X1_I0+12+0+0+2:vgprValuB_X1_I0+12+0+0+2+1], v[vgprValuA_X1_I0+0+0+0:vgprValuA_X1_I0+0+0+0+1], a[168:175]
 // Ci += Ar*Bi
/*  mfmaIndex:160  */
v_add_f64 v[120:121], -v[vgprValuA_X1_I0+4+0+0+2:vgprValuA_X1_I0+4+0+0+2+1], 0 // Ai=-Ai
v_mfma_f64_16x16x4_f64 a[8+0:15+0], v[vgprValuB_X1_I0+0+0+0:vgprValuB_X1_I0+0+0+0+1], v[vgprValuA_X1_I0+4+0+0:vgprValuA_X1_I0+4+0+0+1], a[8:15]
 // Cr += Ar*Br
/*  mfmaIndex:161  */
/* sched write - iter 3 writesPerItem=1 */
s_waitcnt vmcnt(0)                                 // lgkmcnt=-1 vmcnt=0wait for global read before writing to local
_ds_store_b128 v[vgprLocalWriteAddrB], v[vgprG2LB+16:vgprG2LB+16+3] offset:16384 // lwoB_0_0_4_0 = (0*LSCB) + (4*LSPB)(*MT1J+PAD) = 16384
v_mfma_f64_16x16x4_f64 a[104+0:111+0], v[vgprValuB_X1_I0+0+0+0:vgprValuB_X1_I0+0+0+0+1], v[vgprValuA_X1_I0+4+0+0+2:vgprValuA_X1_I0+4+0+0+2+1], a[104:111]
 // Ci += Ai*Br
/*  mfmaIndex:162  */
v_mfma_f64_16x16x4_f64 a[8+0:15+0], v[vgprValuB_X1_I0+0+0+0+2:vgprValuB_X1_I0+0+0+0+2+1], v[120:121], a[8:15]
 // Cr += -Ai*Bi
/*  mfmaIndex:163  */
v_mfma_f64_16x16x4_f64 a[104+0:111+0], v[vgprValuB_X1_I0+0+0+0+2:vgprValuB_X1_I0+0+0+0+2+1], v[vgprValuA_X1_I0+4+0+0:vgprValuA_X1_I0+4+0+0+1], a[104:111]
 // Ci += Ar*Bi
/*  mfmaIndex:164  */
v_mfma_f64_16x16x4_f64 a[32+0:39+0], v[vgprValuB_X1_I0+4+0+0:vgprValuB_X1_I0+4+0+0+1], v[vgprValuA_X1_I0+4+0+0:vgprValuA_X1_I0+4+0+0+1], a[32:39]
 // Cr += Ar*Br
/*  mfmaIndex:165  */
v_mfma_f64_16x16x4_f64 a[128+0:135+0], v[vgprValuB_X1_I0+4+0+0:vgprValuB_X1_I0+4+0+0+1], v[vgprValuA_X1_I0+4+0+0+2:vgprValuA_X1_I0+4+0+0+2+1], a[128:135]
 // Ci += Ai*Br
/*  mfmaIndex:166  */
/* sched write - iter 3 writesPerItem=1 */
s_waitcnt vmcnt(0)                                 // lgkmcnt=-1 vmcnt=0wait for global read before writing to local
_ds_store_b128 v[vgprLocalWriteAddrB], v[vgprG2LB+20:vgprG2LB+20+3] offset:20480 // lwoB_0_0_5_0 = (0*LSCB) + (5*LSPB)(*MT1J+PAD) = 20480
v_mfma_f64_16x16x4_f64 a[32+0:39+0], v[vgprValuB_X1_I0+4+0+0+2:vgprValuB_X1_I0+4+0+0+2+1], v[120:121], a[32:39]
 // Cr += -Ai*Bi
/*  mfmaIndex:167  */
v_mfma_f64_16x16x4_f64 a[128+0:135+0], v[vgprValuB_X1_I0+4+0+0+2:vgprValuB_X1_I0+4+0+0+2+1], v[vgprValuA_X1_I0+4+0+0:vgprValuA_X1_I0+4+0+0+1], a[128:135]
 // Ci += Ar*Bi
/*  mfmaIndex:168  */
v_mfma_f64_16x16x4_f64 a[56+0:63+0], v[vgprValuB_X1_I0+8+0+0:vgprValuB_X1_I0+8+0+0+1], v[vgprValuA_X1_I0+4+0+0:vgprValuA_X1_I0+4+0+0+1], a[56:63]
 // Cr += Ar*Br
/*  mfmaIndex:169  */
v_mfma_f64_16x16x4_f64 a[152+0:159+0], v[vgprValuB_X1_I0+8+0+0:vgprValuB_X1_I0+8+0+0+1], v[vgprValuA_X1_I0+4+0+0+2:vgprValuA_X1_I0+4+0+0+2+1], a[152:159]
 // Ci += Ai*Br
/*  mfmaIndex:170  */
v_mfma_f64_16x16x4_f64 a[56+0:63+0], v[vgprValuB_X1_I0+8+0+0+2:vgprValuB_X1_I0+8+0+0+2+1], v[120:121], a[56:63]
 // Cr += -Ai*Bi
/*  mfmaIndex:171  */
v_mfma_f64_16x16x4_f64 a[152+0:159+0], v[vgprValuB_X1_I0+8+0+0+2:vgprValuB_X1_I0+8+0+0+2+1], v[vgprValuA_X1_I0+4+0+0:vgprValuA_X1_I0+4+0+0+1], a[152:159]
 // Ci += Ar*Bi
/*  mfmaIndex:172  */
/* sched write - iter 3 writesPerItem=1 */
s_waitcnt vmcnt(0)                                 // lgkmcnt=-1 vmcnt=0wait for global read before writing to local
_ds_store_b128 v[vgprLocalWriteAddrB], v[vgprG2LB+24:vgprG2LB+24+3] offset:24576 // lwoB_0_0_6_0 = (0*LSCB) + (6*LSPB)(*MT1J+PAD) = 24576
v_mfma_f64_16x16x4_f64 a[80+0:87+0], v[vgprValuB_X1_I0+12+0+0:vgprValuB_X1_I0+12+0+0+1], v[vgprValuA_X1_I0+4+0+0:vgprValuA_X1_I0+4+0+0+1], a[80:87]
 // Cr += Ar*Br
/*  mfmaIndex:173  */
v_mfma_f64_16x16x4_f64 a[176+0:183+0], v[vgprValuB_X1_I0+12+0+0:vgprValuB_X1_I0+12+0+0+1], v[vgprValuA_X1_I0+4+0+0+2:vgprValuA_X1_I0+4+0+0+2+1], a[176:183]
 // Ci += Ai*Br
/*  mfmaIndex:174  */
v_mfma_f64_16x16x4_f64 a[80+0:87+0], v[vgprValuB_X1_I0+12+0+0+2:vgprValuB_X1_I0+12+0+0+2+1], v[120:121], a[80:87]
 // Cr += -Ai*Bi
/*  mfmaIndex:175  */
v_mfma_f64_16x16x4_f64 a[176+0:183+0], v[vgprValuB_X1_I0+12+0+0+2:vgprValuB_X1_I0+12+0+0+2+1], v[vgprValuA_X1_I0+4+0+0:vgprValuA_X1_I0+4+0+0+1], a[176:183]
 // Ci += Ar*Bi
/*  mfmaIndex:176  */
v_add_f64 v[120:121], -v[vgprValuA_X1_I0+8+0+0+2:vgprValuA_X1_I0+8+0+0+2+1], 0 // Ai=-Ai
v_mfma_f64_16x16x4_f64 a[16+0:23+0], v[vgprValuB_X1_I0+0+0+0:vgprValuB_X1_I0+0+0+0+1], v[vgprValuA_X1_I0+8+0+0:vgprValuA_X1_I0+8+0+0+1], a[16:23]
 // Cr += Ar*Br
/*  mfmaIndex:177  */
/* sched write - iter 3 writesPerItem=1 */
s_waitcnt vmcnt(0)                                 // lgkmcnt=-1 vmcnt=0wait for global read before writing to local
_ds_store_b128 v[vgprLocalWriteAddrB], v[vgprG2LB+28:vgprG2LB+28+3] offset:28672 // lwoB_0_0_7_0 = (0*LSCB) + (7*LSPB)(*MT1J+PAD) = 28672
v_mfma_f64_16x16x4_f64 a[112+0:119+0], v[vgprValuB_X1_I0+0+0+0:vgprValuB_X1_I0+0+0+0+1], v[vgprValuA_X1_I0+8+0+0+2:vgprValuA_X1_I0+8+0+0+2+1], a[112:119]
 // Ci += Ai*Br
/*  mfmaIndex:178  */

/* local write swap offsets a */

/* local write swap offsets b */
v_mfma_f64_16x16x4_f64 a[16+0:23+0], v[vgprValuB_X1_I0+0+0+0+2:vgprValuB_X1_I0+0+0+0+2+1], v[120:121], a[16:23]
 // Cr += -Ai*Bi
/*  mfmaIndex:179  */
v_mfma_f64_16x16x4_f64 a[112+0:119+0], v[vgprValuB_X1_I0+0+0+0+2:vgprValuB_X1_I0+0+0+0+2+1], v[vgprValuA_X1_I0+8+0+0:vgprValuA_X1_I0+8+0+0+1], a[112:119]
 // Ci += Ar*Bi
s_setprio 0                                        // store optimization
/*  mfmaIndex:180  */
s_waitcnt lgkmcnt(0)                               // lgkmcnt=0 vmcnt=-13wait for local write
// Skip force waitcnt0
s_barrier //
v_mfma_f64_16x16x4_f64 a[40+0:47+0], v[vgprValuB_X1_I0+4+0+0:vgprValuB_X1_I0+4+0+0+1], v[vgprValuA_X1_I0+8+0+0:vgprValuA_X1_I0+8+0+0+1], a[40:47]
 // Cr += Ar*Br
/*  mfmaIndex:181  */
s_setprio 3                                        // store optimization
_ds_load_b128 v[vgprValuA_X0_I0+0:vgprValuA_X0_I0+0+3], v[vgprLocalReadAddrA] offset:0 // L -> Reg lro=0 swapByteOffset=0 ti=32 vIdx=0 rIdx=0 oIdx=0 buffer=0 iui=0
v_mfma_f64_16x16x4_f64 a[136+0:143+0], v[vgprValuB_X1_I0+4+0+0:vgprValuB_X1_I0+4+0+0+1], v[vgprValuA_X1_I0+8+0+0+2:vgprValuA_X1_I0+8+0+0+2+1], a[136:143]
 // Ci += Ai*Br
/*  mfmaIndex:182  */
_ds_load_b128 v[vgprValuB_X0_I0+0:vgprValuB_X0_I0+0+3], v[vgprLocalReadAddrB] offset:0 // L -> Reg lro=0 swapByteOffset=0 ti=32 vIdx=0 rIdx=0 oIdx=0 buffer=0 iui=0
v_mfma_f64_16x16x4_f64 a[40+0:47+0], v[vgprValuB_X1_I0+4+0+0+2:vgprValuB_X1_I0+4+0+0+2+1], v[120:121], a[40:47]
 // Cr += -Ai*Bi
/*  mfmaIndex:183  */
_ds_load_b128 v[vgprValuA_X0_I0+4:vgprValuA_X0_I0+4+3], v[vgprLocalReadAddrA] offset:9216 // L -> Reg lro=0 swapByteOffset=0 ti=32 vIdx=1 rIdx=0 oIdx=0 buffer=0 iui=0
v_mfma_f64_16x16x4_f64 a[136+0:143+0], v[vgprValuB_X1_I0+4+0+0+2:vgprValuB_X1_I0+4+0+0+2+1], v[vgprValuA_X1_I0+8+0+0:vgprValuA_X1_I0+8+0+0+1], a[136:143]
 // Ci += Ar*Bi
/*  mfmaIndex:184  */
_ds_load_b128 v[vgprValuA_X0_I0+8:vgprValuA_X0_I0+8+3], v[vgprLocalReadAddrA] offset:18432 // L -> Reg lro=0 swapByteOffset=0 ti=32 vIdx=2 rIdx=0 oIdx=0 buffer=0 iui=0
v_mfma_f64_16x16x4_f64 a[64+0:71+0], v[vgprValuB_X1_I0+8+0+0:vgprValuB_X1_I0+8+0+0+1], v[vgprValuA_X1_I0+8+0+0:vgprValuA_X1_I0+8+0+0+1], a[64:71]
 // Cr += Ar*Br
/*  mfmaIndex:185  */
_ds_load_b128 v[vgprValuB_X0_I0+4:vgprValuB_X0_I0+4+3], v[vgprLocalReadAddrB] offset:512 // L -> Reg lro=0 swapByteOffset=0 ti=32 vIdx=1 rIdx=0 oIdx=0 buffer=0 iui=0
v_mfma_f64_16x16x4_f64 a[160+0:167+0], v[vgprValuB_X1_I0+8+0+0:vgprValuB_X1_I0+8+0+0+1], v[vgprValuA_X1_I0+8+0+0+2:vgprValuA_X1_I0+8+0+0+2+1], a[160:167]
 // Ci += Ai*Br
/*  mfmaIndex:186  */
_ds_load_b128 v[vgprValuB_X0_I0+8:vgprValuB_X0_I0+8+3], v[vgprLocalReadAddrB] offset:1024 // L -> Reg lro=0 swapByteOffset=0 ti=32 vIdx=2 rIdx=0 oIdx=0 buffer=0 iui=0
v_mfma_f64_16x16x4_f64 a[64+0:71+0], v[vgprValuB_X1_I0+8+0+0+2:vgprValuB_X1_I0+8+0+0+2+1], v[120:121], a[64:71]
 // Cr += -Ai*Bi
/*  mfmaIndex:187  */
_ds_load_b128 v[vgprValuB_X0_I0+12:vgprValuB_X0_I0+12+3], v[vgprLocalReadAddrB] offset:1536 // L -> Reg lro=0 swapByteOffset=0 ti=32 vIdx=3 rIdx=0 oIdx=0 buffer=0 iui=0
v_mfma_f64_16x16x4_f64 a[160+0:167+0], v[vgprValuB_X1_I0+8+0+0+2:vgprValuB_X1_I0+8+0+0+2+1], v[vgprValuA_X1_I0+8+0+0:vgprValuA_X1_I0+8+0+0+1], a[160:167]
 // Ci += Ar*Bi
/*  mfmaIndex:188  */
v_mfma_f64_16x16x4_f64 a[88+0:95+0], v[vgprValuB_X1_I0+12+0+0:vgprValuB_X1_I0+12+0+0+1], v[vgprValuA_X1_I0+8+0+0:vgprValuA_X1_I0+8+0+0+1], a[88:95]
 // Cr += Ar*Br
/*  mfmaIndex:189  */
v_mfma_f64_16x16x4_f64 a[184+0:191+0], v[vgprValuB_X1_I0+12+0+0:vgprValuB_X1_I0+12+0+0+1], v[vgprValuA_X1_I0+8+0+0+2:vgprValuA_X1_I0+8+0+0+2+1], a[184:191]
 // Ci += Ai*Br
/*  mfmaIndex:190  */
v_mfma_f64_16x16x4_f64 a[88+0:95+0], v[vgprValuB_X1_I0+12+0+0+2:vgprValuB_X1_I0+12+0+0+2+1], v[120:121], a[88:95]
 // Cr += -Ai*Bi
/*  mfmaIndex:191  */
v_mfma_f64_16x16x4_f64 a[184+0:191+0], v[vgprValuB_X1_I0+12+0+0+2:vgprValuB_X1_I0+12+0+0+2+1], v[vgprValuA_X1_I0+8+0+0:vgprValuA_X1_I0+8+0+0+1], a[184:191]
 // Ci += Ar*Bi
s_setprio 0                                        // store optimization
/* numPrefetchIter=1 */
/* dataAtIterA=2 numReadsIterA=3 skipReadsIterA=1 readsPerIterA=3 */
/* dataAtIterB=2 numReadsIterB=3 skipReadsIterB=1 readsPerIterB=4 */

label_0014:


/******************************************/
/* Opt. NoLoadLoop Without PAP - Begin                                      */
/******************************************/

s_mov_b32 s76, s[sgprBeta+0]                       // tmp = Beta[0]
s_or_b32 s76, s[sgprBeta+1], s76                   // tmp |= Beta[1] 
s_or_b32 s76, s[sgprBeta+2], s76                   // tmp |= Beta[2] 
	;; [unrolled: 1-line block ×3, first 2 shown]
s_cmpk_eq_u32 s76, 0x0                             // Beta == 0
s_cbranch_scc0 OptNLL_End_17                       // Branch if Beta is not zero

s_mov_b32 s76, 0x00000000                          // lsb of real part of 1.0
s_mov_b32 s77, 0x3ff00000                          // msb of real part of 1.0
s_cmp_eq_u64 s[sgprAlpha:sgprAlpha+1], s[76:77]    // Alpha.real == 1.0 ?
s_cbranch_scc0 OptNLL_End_17                       // branch if alpha.real != 1
s_mov_b32 s76, 0x00000000                          // lsb of imag part of 0.0
s_mov_b32 s77, 0x00000000                          // msb of imag part of 0.0
s_cmp_eq_u64 s[sgprAlpha+2:sgprAlpha+2+1], s[76:77] // Alpha.imag == 0.0 ?
s_cbranch_scc0 OptNLL_End_17                       // branch if alpha != 1

s_mov_b32 s79, 0x0                                 // STATIC_DIV: divisior=96
s_mul_i32 s78, 0x555, s[sgprSizeI]                 // tmp1 = dividend * magic hi
s_lshl_b64 s[78:79], s[78:79], 0x10                // left shift 16 bits
s_mul_i32 s77, s[sgprSizeI], 0x5556                // tmp0 = dividend * magic lo
s_add_u32 s78, s77, s78                            // add lo
s_addc_u32 s79, s79, 0x0                           // add hi
s_lshr_b64 s[78:79], s[78:79], 0x21                // tmp1 = (dividend * magic) << shift
s_mov_b32 s77, s78                                 // quotient
s_mul_i32 s78, s77, 0x60                           // quotient*divisor
s_sub_u32 s76, s[sgprSizeI], s78                   // rReg = dividend - quotient*divisor
s_add_u32 s77, -0x1, s[sgprNumWorkGroups0]         // 
s_cmp_ge_u32 s[sgprWorkGroup0], s77                // wg0 >= nwg0-1 ?
s_cselect_b32 s76, s76, 0                          // set rMT0
s_cmpk_gt_u32 s76, 0x0                             // rMT0 > 0
s_cbranch_scc1 OptNLL_End_17                       // jump if edges required
s_and_b32 s76, 127, s[sgprSizeJ]                   // s76 = s[sgprSizeJ] % 128
s_add_u32 s77, -0x1, s[sgprNumWorkGroups1]         // 
s_cmp_ge_u32 s[sgprWorkGroup1], s77                // wg1 >= nwg1-1
s_cselect_b32 s76, s76, 0                          // set rMT1
s_cmpk_gt_u32 s76, 0x0                             // rMT1 > 0
s_cbranch_scc1 OptNLL_End_17                       // jump if edges required

s_and_b32 s77, 15, s[sgprSizesSum+0]               // s77 = s[sgprSizesSum+0] % 16
s_cmp_eq_u32 s77, 0x0                              // numIterL == 0
s_cbranch_scc0 OptNLL_End_17                       // skip if tail loop required


	;; [unrolled: 1-line block ×3, first 2 shown]
/* iter 0 (last unrolled loop) */

/*  grEndMfmaIndex:0, lwStartMfmaIndex:178, lwEndMfmaIndex:178  */
/*  numMfmaForLR:11, barrierMfmaIndex:180, LocalWritePerMfma:0.190 */
/*  mfmaIndex:0  */
s_waitcnt lgkmcnt(0)                               // lgkmcnt=0 vmcnt=-1wait for prior local read local write old=0, new=0 newLW=0 newLR=0
v_add_f64 v[120:121], -v[vgprValuA_X0_I0+0+0+0+2:vgprValuA_X0_I0+0+0+0+2+1], 0 // Ai=-Ai
v_mfma_f64_16x16x4_f64 a[0+0:7+0], v[vgprValuB_X0_I0+0+0+0:vgprValuB_X0_I0+0+0+0+1], v[vgprValuA_X0_I0+0+0+0:vgprValuA_X0_I0+0+0+0+1], a[0:7]
 // Cr += Ar*Br
/*  mfmaIndex:1  */
_ds_load_b128 v[vgprValuA_X1_I0+0:vgprValuA_X1_I0+0+3], v[vgprLocalReadAddrA] offset:64 // L -> Reg lro=4 swapByteOffset=0 ti=32 vIdx=0 rIdx=0 oIdx=0 buffer=1 iui=0
v_mfma_f64_16x16x4_f64 a[96+0:103+0], v[vgprValuB_X0_I0+0+0+0:vgprValuB_X0_I0+0+0+0+1], v[vgprValuA_X0_I0+0+0+0+2:vgprValuA_X0_I0+0+0+0+2+1], a[96:103]
 // Ci += Ai*Br
/*  mfmaIndex:2  */
_ds_load_b128 v[vgprValuB_X1_I0+0:vgprValuB_X1_I0+0+3], v[vgprLocalReadAddrB] offset:8192 // L -> Reg lro=512 swapByteOffset=0 ti=32 vIdx=0 rIdx=0 oIdx=0 buffer=1 iui=0
v_mfma_f64_16x16x4_f64 a[0+0:7+0], v[vgprValuB_X0_I0+0+0+0+2:vgprValuB_X0_I0+0+0+0+2+1], v[120:121], a[0:7]
 // Cr += -Ai*Bi
/*  mfmaIndex:3  */
_ds_load_b128 v[vgprValuA_X1_I0+4:vgprValuA_X1_I0+4+3], v[vgprLocalReadAddrA] offset:9280 // L -> Reg lro=4 swapByteOffset=0 ti=32 vIdx=1 rIdx=0 oIdx=0 buffer=1 iui=0
v_mfma_f64_16x16x4_f64 a[96+0:103+0], v[vgprValuB_X0_I0+0+0+0+2:vgprValuB_X0_I0+0+0+0+2+1], v[vgprValuA_X0_I0+0+0+0:vgprValuA_X0_I0+0+0+0+1], a[96:103]
 // Ci += Ar*Bi
/*  mfmaIndex:4  */
_ds_load_b128 v[vgprValuA_X1_I0+8:vgprValuA_X1_I0+8+3], v[vgprLocalReadAddrA] offset:18496 // L -> Reg lro=4 swapByteOffset=0 ti=32 vIdx=2 rIdx=0 oIdx=0 buffer=1 iui=0
v_mfma_f64_16x16x4_f64 a[24+0:31+0], v[vgprValuB_X0_I0+4+0+0:vgprValuB_X0_I0+4+0+0+1], v[vgprValuA_X0_I0+0+0+0:vgprValuA_X0_I0+0+0+0+1], a[24:31]
 // Cr += Ar*Br
/*  mfmaIndex:5  */
_ds_load_b128 v[vgprValuB_X1_I0+4:vgprValuB_X1_I0+4+3], v[vgprLocalReadAddrB] offset:8704 // L -> Reg lro=512 swapByteOffset=0 ti=32 vIdx=1 rIdx=0 oIdx=0 buffer=1 iui=0
v_mfma_f64_16x16x4_f64 a[120+0:127+0], v[vgprValuB_X0_I0+4+0+0:vgprValuB_X0_I0+4+0+0+1], v[vgprValuA_X0_I0+0+0+0+2:vgprValuA_X0_I0+0+0+0+2+1], a[120:127]
 // Ci += Ai*Br
/*  mfmaIndex:6  */
_ds_load_b128 v[vgprValuB_X1_I0+8:vgprValuB_X1_I0+8+3], v[vgprLocalReadAddrB] offset:9216 // L -> Reg lro=512 swapByteOffset=0 ti=32 vIdx=2 rIdx=0 oIdx=0 buffer=1 iui=0
v_mfma_f64_16x16x4_f64 a[24+0:31+0], v[vgprValuB_X0_I0+4+0+0+2:vgprValuB_X0_I0+4+0+0+2+1], v[120:121], a[24:31]
 // Cr += -Ai*Bi
/*  mfmaIndex:7  */
_ds_load_b128 v[vgprValuB_X1_I0+12:vgprValuB_X1_I0+12+3], v[vgprLocalReadAddrB] offset:9728 // L -> Reg lro=512 swapByteOffset=0 ti=32 vIdx=3 rIdx=0 oIdx=0 buffer=1 iui=0
/* localReadsVacancy: latencyLeft 1 */
v_mfma_f64_16x16x4_f64 a[120+0:127+0], v[vgprValuB_X0_I0+4+0+0+2:vgprValuB_X0_I0+4+0+0+2+1], v[vgprValuA_X0_I0+0+0+0:vgprValuA_X0_I0+0+0+0+1], a[120:127]
 // Ci += Ar*Bi
/*  mfmaIndex:8  */
/* localReadsVacancy: latencyLeft 5 */
v_mfma_f64_16x16x4_f64 a[48+0:55+0], v[vgprValuB_X0_I0+8+0+0:vgprValuB_X0_I0+8+0+0+1], v[vgprValuA_X0_I0+0+0+0:vgprValuA_X0_I0+0+0+0+1], a[48:55]
 // Cr += Ar*Br
/*  mfmaIndex:9  */
/* localReadsVacancy: latencyLeft 5 */
v_mfma_f64_16x16x4_f64 a[144+0:151+0], v[vgprValuB_X0_I0+8+0+0:vgprValuB_X0_I0+8+0+0+1], v[vgprValuA_X0_I0+0+0+0+2:vgprValuA_X0_I0+0+0+0+2+1], a[144:151]
 // Ci += Ai*Br
/*  mfmaIndex:10  */
/* localReadsVacancy: latencyLeft 5 */
v_mfma_f64_16x16x4_f64 a[48+0:55+0], v[vgprValuB_X0_I0+8+0+0+2:vgprValuB_X0_I0+8+0+0+2+1], v[120:121], a[48:55]
 // Cr += -Ai*Bi
/*  mfmaIndex:11  */
/* localReadsVacancy: latencyLeft 5 */
v_mfma_f64_16x16x4_f64 a[144+0:151+0], v[vgprValuB_X0_I0+8+0+0+2:vgprValuB_X0_I0+8+0+0+2+1], v[vgprValuA_X0_I0+0+0+0:vgprValuA_X0_I0+0+0+0+1], a[144:151]
 // Ci += Ar*Bi
/*  mfmaIndex:12  */
/* localReadsVacancy: latencyLeft 5 */
v_mfma_f64_16x16x4_f64 a[72+0:79+0], v[vgprValuB_X0_I0+12+0+0:vgprValuB_X0_I0+12+0+0+1], v[vgprValuA_X0_I0+0+0+0:vgprValuA_X0_I0+0+0+0+1], a[72:79]
 // Cr += Ar*Br
/*  mfmaIndex:13  */
/* localReadsVacancy: latencyLeft 5 */
v_mfma_f64_16x16x4_f64 a[168+0:175+0], v[vgprValuB_X0_I0+12+0+0:vgprValuB_X0_I0+12+0+0+1], v[vgprValuA_X0_I0+0+0+0+2:vgprValuA_X0_I0+0+0+0+2+1], a[168:175]
 // Ci += Ai*Br
/*  mfmaIndex:14  */
/* localReadsVacancy: latencyLeft 5 */
v_mfma_f64_16x16x4_f64 a[72+0:79+0], v[vgprValuB_X0_I0+12+0+0+2:vgprValuB_X0_I0+12+0+0+2+1], v[120:121], a[72:79]
 // Cr += -Ai*Bi
/*  mfmaIndex:15  */
/* localReadsVacancy: latencyLeft 5 */
v_mfma_f64_16x16x4_f64 a[168+0:175+0], v[vgprValuB_X0_I0+12+0+0+2:vgprValuB_X0_I0+12+0+0+2+1], v[vgprValuA_X0_I0+0+0+0:vgprValuA_X0_I0+0+0+0+1], a[168:175]
 // Ci += Ar*Bi
/*  mfmaIndex:16  */
/* localReadsVacancy: latencyLeft 5 */
v_add_f64 v[120:121], -v[vgprValuA_X0_I0+4+0+0+2:vgprValuA_X0_I0+4+0+0+2+1], 0 // Ai=-Ai
v_mfma_f64_16x16x4_f64 a[8+0:15+0], v[vgprValuB_X0_I0+0+0+0:vgprValuB_X0_I0+0+0+0+1], v[vgprValuA_X0_I0+4+0+0:vgprValuA_X0_I0+4+0+0+1], a[8:15]
 // Cr += Ar*Br
/*  mfmaIndex:17  */
/* localReadsVacancy: latencyLeft 5 */
v_mfma_f64_16x16x4_f64 a[104+0:111+0], v[vgprValuB_X0_I0+0+0+0:vgprValuB_X0_I0+0+0+0+1], v[vgprValuA_X0_I0+4+0+0+2:vgprValuA_X0_I0+4+0+0+2+1], a[104:111]
 // Ci += Ai*Br
/*  mfmaIndex:18  */
/* localReadsVacancy: latencyLeft 5 */
v_mfma_f64_16x16x4_f64 a[8+0:15+0], v[vgprValuB_X0_I0+0+0+0+2:vgprValuB_X0_I0+0+0+0+2+1], v[120:121], a[8:15]
 // Cr += -Ai*Bi
/*  mfmaIndex:19  */
/* localReadsVacancy: latencyLeft 5 */
v_mfma_f64_16x16x4_f64 a[104+0:111+0], v[vgprValuB_X0_I0+0+0+0+2:vgprValuB_X0_I0+0+0+0+2+1], v[vgprValuA_X0_I0+4+0+0:vgprValuA_X0_I0+4+0+0+1], a[104:111]
 // Ci += Ar*Bi
/*  mfmaIndex:20  */
/* localReadsVacancy: latencyLeft 5 */
v_mfma_f64_16x16x4_f64 a[32+0:39+0], v[vgprValuB_X0_I0+4+0+0:vgprValuB_X0_I0+4+0+0+1], v[vgprValuA_X0_I0+4+0+0:vgprValuA_X0_I0+4+0+0+1], a[32:39]
 // Cr += Ar*Br
/*  mfmaIndex:21  */
/* localReadsVacancy: latencyLeft 5 */
v_mfma_f64_16x16x4_f64 a[128+0:135+0], v[vgprValuB_X0_I0+4+0+0:vgprValuB_X0_I0+4+0+0+1], v[vgprValuA_X0_I0+4+0+0+2:vgprValuA_X0_I0+4+0+0+2+1], a[128:135]
 // Ci += Ai*Br
/*  mfmaIndex:22  */
/* localReadsVacancy: latencyLeft 5 */
v_mfma_f64_16x16x4_f64 a[32+0:39+0], v[vgprValuB_X0_I0+4+0+0+2:vgprValuB_X0_I0+4+0+0+2+1], v[120:121], a[32:39]
 // Cr += -Ai*Bi
/*  mfmaIndex:23  */
/* localReadsVacancy: latencyLeft 5 */
v_mfma_f64_16x16x4_f64 a[128+0:135+0], v[vgprValuB_X0_I0+4+0+0+2:vgprValuB_X0_I0+4+0+0+2+1], v[vgprValuA_X0_I0+4+0+0:vgprValuA_X0_I0+4+0+0+1], a[128:135]
 // Ci += Ar*Bi
/*  mfmaIndex:24  */
/* localReadsVacancy: latencyLeft 5 */
	;; [unrolled: 16-line block ×4, first 2 shown]
v_add_f64 v[120:121], -v[vgprValuA_X0_I0+8+0+0+2:vgprValuA_X0_I0+8+0+0+2+1], 0 // Ai=-Ai
v_mfma_f64_16x16x4_f64 a[16+0:23+0], v[vgprValuB_X0_I0+0+0+0:vgprValuB_X0_I0+0+0+0+1], v[vgprValuA_X0_I0+8+0+0:vgprValuA_X0_I0+8+0+0+1], a[16:23]
 // Cr += Ar*Br
/*  mfmaIndex:33  */
/* localReadsVacancy: latencyLeft 5 */
v_mfma_f64_16x16x4_f64 a[112+0:119+0], v[vgprValuB_X0_I0+0+0+0:vgprValuB_X0_I0+0+0+0+1], v[vgprValuA_X0_I0+8+0+0+2:vgprValuA_X0_I0+8+0+0+2+1], a[112:119]
 // Ci += Ai*Br
/*  mfmaIndex:34  */
/* localReadsVacancy: latencyLeft 5 */
v_mfma_f64_16x16x4_f64 a[16+0:23+0], v[vgprValuB_X0_I0+0+0+0+2:vgprValuB_X0_I0+0+0+0+2+1], v[120:121], a[16:23]
 // Cr += -Ai*Bi
/*  mfmaIndex:35  */
/* localReadsVacancy: latencyLeft 5 */
v_mfma_f64_16x16x4_f64 a[112+0:119+0], v[vgprValuB_X0_I0+0+0+0+2:vgprValuB_X0_I0+0+0+0+2+1], v[vgprValuA_X0_I0+8+0+0:vgprValuA_X0_I0+8+0+0+1], a[112:119]
 // Ci += Ar*Bi
/*  mfmaIndex:36  */
/* localReadsVacancy: latencyLeft 5 */
v_mfma_f64_16x16x4_f64 a[40+0:47+0], v[vgprValuB_X0_I0+4+0+0:vgprValuB_X0_I0+4+0+0+1], v[vgprValuA_X0_I0+8+0+0:vgprValuA_X0_I0+8+0+0+1], a[40:47]
 // Cr += Ar*Br
/*  mfmaIndex:37  */
/* localReadsVacancy: latencyLeft 5 */
v_mfma_f64_16x16x4_f64 a[136+0:143+0], v[vgprValuB_X0_I0+4+0+0:vgprValuB_X0_I0+4+0+0+1], v[vgprValuA_X0_I0+8+0+0+2:vgprValuA_X0_I0+8+0+0+2+1], a[136:143]
 // Ci += Ai*Br
/*  mfmaIndex:38  */
/* localReadsVacancy: latencyLeft 5 */
v_mfma_f64_16x16x4_f64 a[40+0:47+0], v[vgprValuB_X0_I0+4+0+0+2:vgprValuB_X0_I0+4+0+0+2+1], v[120:121], a[40:47]
 // Cr += -Ai*Bi
/*  mfmaIndex:39  */
/* localReadsVacancy: latencyLeft 5 */
v_mfma_f64_16x16x4_f64 a[136+0:143+0], v[vgprValuB_X0_I0+4+0+0+2:vgprValuB_X0_I0+4+0+0+2+1], v[vgprValuA_X0_I0+8+0+0:vgprValuA_X0_I0+8+0+0+1], a[136:143]
 // Ci += Ar*Bi
/*  mfmaIndex:40  */
/* localReadsVacancy: latencyLeft 5 */
	;; [unrolled: 16-line block ×3, first 2 shown]
v_mfma_f64_16x16x4_f64 a[88+0:95+0], v[vgprValuB_X0_I0+12+0+0:vgprValuB_X0_I0+12+0+0+1], v[vgprValuA_X0_I0+8+0+0:vgprValuA_X0_I0+8+0+0+1], a[88:95]
 // Cr += Ar*Br
/*  mfmaIndex:45  */
/* localReadsVacancy: latencyLeft 5 */
v_mfma_f64_16x16x4_f64 a[184+0:191+0], v[vgprValuB_X0_I0+12+0+0:vgprValuB_X0_I0+12+0+0+1], v[vgprValuA_X0_I0+8+0+0+2:vgprValuA_X0_I0+8+0+0+2+1], a[184:191]
 // Ci += Ai*Br
/*  mfmaIndex:46  */
/* localReadsVacancy: latencyLeft 5 */
v_mfma_f64_16x16x4_f64 a[88+0:95+0], v[vgprValuB_X0_I0+12+0+0+2:vgprValuB_X0_I0+12+0+0+2+1], v[120:121], a[88:95]
 // Cr += -Ai*Bi
/*  mfmaIndex:47  */
/* localReadsVacancy: latencyLeft 5 */
v_mfma_f64_16x16x4_f64 a[184+0:191+0], v[vgprValuB_X0_I0+12+0+0+2:vgprValuB_X0_I0+12+0+0+2+1], v[vgprValuA_X0_I0+8+0+0:vgprValuA_X0_I0+8+0+0+1], a[184:191]
 // Ci += Ar*Bi
/* numPrefetchIter=0 */
/* dataAtIterA=-1 numReadsIterA=1 skipReadsIterA=1 readsPerIterA=3 */
/* dataAtIterB=-1 numReadsIterB=1 skipReadsIterB=1 readsPerIterB=4 */


/* iter 1 (last unrolled loop) */

/*  grEndMfmaIndex:0, lwStartMfmaIndex:178, lwEndMfmaIndex:178  */
/*  numMfmaForLR:11, barrierMfmaIndex:180, LocalWritePerMfma:0.190 */
/*  mfmaIndex:48  */
_ds_load_b128 v[vgprValuA_X0_I0+0:vgprValuA_X0_I0+0+3], v[vgprLocalReadAddrA] offset:128 // L -> Reg lro=8 swapByteOffset=0 ti=32 vIdx=0 rIdx=0 oIdx=0 buffer=0 iui=0
s_waitcnt lgkmcnt(1)                               // lgkmcnt=0 vmcnt=-1wait for prior local read local write old=0, new=1 newLW=0 newLR=1
v_add_f64 v[120:121], -v[vgprValuA_X1_I0+0+0+0+2:vgprValuA_X1_I0+0+0+0+2+1], 0 // Ai=-Ai
v_mfma_f64_16x16x4_f64 a[0+0:7+0], v[vgprValuB_X1_I0+0+0+0:vgprValuB_X1_I0+0+0+0+1], v[vgprValuA_X1_I0+0+0+0:vgprValuA_X1_I0+0+0+0+1], a[0:7]
 // Cr += Ar*Br
/*  mfmaIndex:49  */
_ds_load_b128 v[vgprValuB_X0_I0+0:vgprValuB_X0_I0+0+3], v[vgprLocalReadAddrB] offset:16384 // L -> Reg lro=1024 swapByteOffset=0 ti=32 vIdx=0 rIdx=0 oIdx=0 buffer=0 iui=0
v_mfma_f64_16x16x4_f64 a[96+0:103+0], v[vgprValuB_X1_I0+0+0+0:vgprValuB_X1_I0+0+0+0+1], v[vgprValuA_X1_I0+0+0+0+2:vgprValuA_X1_I0+0+0+0+2+1], a[96:103]
 // Ci += Ai*Br
/*  mfmaIndex:50  */
_ds_load_b128 v[vgprValuA_X0_I0+4:vgprValuA_X0_I0+4+3], v[vgprLocalReadAddrA] offset:9344 // L -> Reg lro=8 swapByteOffset=0 ti=32 vIdx=1 rIdx=0 oIdx=0 buffer=0 iui=0
v_mfma_f64_16x16x4_f64 a[0+0:7+0], v[vgprValuB_X1_I0+0+0+0+2:vgprValuB_X1_I0+0+0+0+2+1], v[120:121], a[0:7]
 // Cr += -Ai*Bi
/*  mfmaIndex:51  */
_ds_load_b128 v[vgprValuA_X0_I0+8:vgprValuA_X0_I0+8+3], v[vgprLocalReadAddrA] offset:18560 // L -> Reg lro=8 swapByteOffset=0 ti=32 vIdx=2 rIdx=0 oIdx=0 buffer=0 iui=0
v_mfma_f64_16x16x4_f64 a[96+0:103+0], v[vgprValuB_X1_I0+0+0+0+2:vgprValuB_X1_I0+0+0+0+2+1], v[vgprValuA_X1_I0+0+0+0:vgprValuA_X1_I0+0+0+0+1], a[96:103]
 // Ci += Ar*Bi
/*  mfmaIndex:52  */
_ds_load_b128 v[vgprValuB_X0_I0+4:vgprValuB_X0_I0+4+3], v[vgprLocalReadAddrB] offset:16896 // L -> Reg lro=1024 swapByteOffset=0 ti=32 vIdx=1 rIdx=0 oIdx=0 buffer=0 iui=0
v_mfma_f64_16x16x4_f64 a[24+0:31+0], v[vgprValuB_X1_I0+4+0+0:vgprValuB_X1_I0+4+0+0+1], v[vgprValuA_X1_I0+0+0+0:vgprValuA_X1_I0+0+0+0+1], a[24:31]
 // Cr += Ar*Br
/*  mfmaIndex:53  */
_ds_load_b128 v[vgprValuB_X0_I0+8:vgprValuB_X0_I0+8+3], v[vgprLocalReadAddrB] offset:17408 // L -> Reg lro=1024 swapByteOffset=0 ti=32 vIdx=2 rIdx=0 oIdx=0 buffer=0 iui=0
v_mfma_f64_16x16x4_f64 a[120+0:127+0], v[vgprValuB_X1_I0+4+0+0:vgprValuB_X1_I0+4+0+0+1], v[vgprValuA_X1_I0+0+0+0+2:vgprValuA_X1_I0+0+0+0+2+1], a[120:127]
 // Ci += Ai*Br
/*  mfmaIndex:54  */
_ds_load_b128 v[vgprValuB_X0_I0+12:vgprValuB_X0_I0+12+3], v[vgprLocalReadAddrB] offset:17920 // L -> Reg lro=1024 swapByteOffset=0 ti=32 vIdx=3 rIdx=0 oIdx=0 buffer=0 iui=0
/* localReadsVacancy: latencyLeft 1 */
v_mfma_f64_16x16x4_f64 a[24+0:31+0], v[vgprValuB_X1_I0+4+0+0+2:vgprValuB_X1_I0+4+0+0+2+1], v[120:121], a[24:31]
 // Cr += -Ai*Bi
/*  mfmaIndex:55  */
/* localReadsVacancy: latencyLeft 5 */
v_mfma_f64_16x16x4_f64 a[120+0:127+0], v[vgprValuB_X1_I0+4+0+0+2:vgprValuB_X1_I0+4+0+0+2+1], v[vgprValuA_X1_I0+0+0+0:vgprValuA_X1_I0+0+0+0+1], a[120:127]
 // Ci += Ar*Bi
/*  mfmaIndex:56  */
/* localReadsVacancy: latencyLeft 5 */
v_mfma_f64_16x16x4_f64 a[48+0:55+0], v[vgprValuB_X1_I0+8+0+0:vgprValuB_X1_I0+8+0+0+1], v[vgprValuA_X1_I0+0+0+0:vgprValuA_X1_I0+0+0+0+1], a[48:55]
 // Cr += Ar*Br
/*  mfmaIndex:57  */
/* localReadsVacancy: latencyLeft 5 */
v_mfma_f64_16x16x4_f64 a[144+0:151+0], v[vgprValuB_X1_I0+8+0+0:vgprValuB_X1_I0+8+0+0+1], v[vgprValuA_X1_I0+0+0+0+2:vgprValuA_X1_I0+0+0+0+2+1], a[144:151]
 // Ci += Ai*Br
/*  mfmaIndex:58  */
/* localReadsVacancy: latencyLeft 5 */
v_mfma_f64_16x16x4_f64 a[48+0:55+0], v[vgprValuB_X1_I0+8+0+0+2:vgprValuB_X1_I0+8+0+0+2+1], v[120:121], a[48:55]
 // Cr += -Ai*Bi
/*  mfmaIndex:59  */
/* localReadsVacancy: latencyLeft 5 */
v_mfma_f64_16x16x4_f64 a[144+0:151+0], v[vgprValuB_X1_I0+8+0+0+2:vgprValuB_X1_I0+8+0+0+2+1], v[vgprValuA_X1_I0+0+0+0:vgprValuA_X1_I0+0+0+0+1], a[144:151]
 // Ci += Ar*Bi
/*  mfmaIndex:60  */
/* localReadsVacancy: latencyLeft 5 */
v_mfma_f64_16x16x4_f64 a[72+0:79+0], v[vgprValuB_X1_I0+12+0+0:vgprValuB_X1_I0+12+0+0+1], v[vgprValuA_X1_I0+0+0+0:vgprValuA_X1_I0+0+0+0+1], a[72:79]
 // Cr += Ar*Br
/*  mfmaIndex:61  */
/* localReadsVacancy: latencyLeft 5 */
v_mfma_f64_16x16x4_f64 a[168+0:175+0], v[vgprValuB_X1_I0+12+0+0:vgprValuB_X1_I0+12+0+0+1], v[vgprValuA_X1_I0+0+0+0+2:vgprValuA_X1_I0+0+0+0+2+1], a[168:175]
 // Ci += Ai*Br
/*  mfmaIndex:62  */
/* localReadsVacancy: latencyLeft 5 */
v_mfma_f64_16x16x4_f64 a[72+0:79+0], v[vgprValuB_X1_I0+12+0+0+2:vgprValuB_X1_I0+12+0+0+2+1], v[120:121], a[72:79]
 // Cr += -Ai*Bi
/*  mfmaIndex:63  */
/* localReadsVacancy: latencyLeft 5 */
v_mfma_f64_16x16x4_f64 a[168+0:175+0], v[vgprValuB_X1_I0+12+0+0+2:vgprValuB_X1_I0+12+0+0+2+1], v[vgprValuA_X1_I0+0+0+0:vgprValuA_X1_I0+0+0+0+1], a[168:175]
 // Ci += Ar*Bi
/*  mfmaIndex:64  */
/* localReadsVacancy: latencyLeft 5 */
v_add_f64 v[120:121], -v[vgprValuA_X1_I0+4+0+0+2:vgprValuA_X1_I0+4+0+0+2+1], 0 // Ai=-Ai
v_mfma_f64_16x16x4_f64 a[8+0:15+0], v[vgprValuB_X1_I0+0+0+0:vgprValuB_X1_I0+0+0+0+1], v[vgprValuA_X1_I0+4+0+0:vgprValuA_X1_I0+4+0+0+1], a[8:15]
 // Cr += Ar*Br
/*  mfmaIndex:65  */
/* localReadsVacancy: latencyLeft 5 */
v_mfma_f64_16x16x4_f64 a[104+0:111+0], v[vgprValuB_X1_I0+0+0+0:vgprValuB_X1_I0+0+0+0+1], v[vgprValuA_X1_I0+4+0+0+2:vgprValuA_X1_I0+4+0+0+2+1], a[104:111]
 // Ci += Ai*Br
/*  mfmaIndex:66  */
/* localReadsVacancy: latencyLeft 5 */
v_mfma_f64_16x16x4_f64 a[8+0:15+0], v[vgprValuB_X1_I0+0+0+0+2:vgprValuB_X1_I0+0+0+0+2+1], v[120:121], a[8:15]
 // Cr += -Ai*Bi
/*  mfmaIndex:67  */
/* localReadsVacancy: latencyLeft 5 */
v_mfma_f64_16x16x4_f64 a[104+0:111+0], v[vgprValuB_X1_I0+0+0+0+2:vgprValuB_X1_I0+0+0+0+2+1], v[vgprValuA_X1_I0+4+0+0:vgprValuA_X1_I0+4+0+0+1], a[104:111]
 // Ci += Ar*Bi
/*  mfmaIndex:68  */
/* localReadsVacancy: latencyLeft 5 */
v_mfma_f64_16x16x4_f64 a[32+0:39+0], v[vgprValuB_X1_I0+4+0+0:vgprValuB_X1_I0+4+0+0+1], v[vgprValuA_X1_I0+4+0+0:vgprValuA_X1_I0+4+0+0+1], a[32:39]
 // Cr += Ar*Br
/*  mfmaIndex:69  */
/* localReadsVacancy: latencyLeft 5 */
v_mfma_f64_16x16x4_f64 a[128+0:135+0], v[vgprValuB_X1_I0+4+0+0:vgprValuB_X1_I0+4+0+0+1], v[vgprValuA_X1_I0+4+0+0+2:vgprValuA_X1_I0+4+0+0+2+1], a[128:135]
 // Ci += Ai*Br
/*  mfmaIndex:70  */
/* localReadsVacancy: latencyLeft 5 */
v_mfma_f64_16x16x4_f64 a[32+0:39+0], v[vgprValuB_X1_I0+4+0+0+2:vgprValuB_X1_I0+4+0+0+2+1], v[120:121], a[32:39]
 // Cr += -Ai*Bi
/*  mfmaIndex:71  */
/* localReadsVacancy: latencyLeft 5 */
v_mfma_f64_16x16x4_f64 a[128+0:135+0], v[vgprValuB_X1_I0+4+0+0+2:vgprValuB_X1_I0+4+0+0+2+1], v[vgprValuA_X1_I0+4+0+0:vgprValuA_X1_I0+4+0+0+1], a[128:135]
 // Ci += Ar*Bi
/*  mfmaIndex:72  */
/* localReadsVacancy: latencyLeft 5 */
v_mfma_f64_16x16x4_f64 a[56+0:63+0], v[vgprValuB_X1_I0+8+0+0:vgprValuB_X1_I0+8+0+0+1], v[vgprValuA_X1_I0+4+0+0:vgprValuA_X1_I0+4+0+0+1], a[56:63]
 // Cr += Ar*Br
/*  mfmaIndex:73  */
/* localReadsVacancy: latencyLeft 5 */
v_mfma_f64_16x16x4_f64 a[152+0:159+0], v[vgprValuB_X1_I0+8+0+0:vgprValuB_X1_I0+8+0+0+1], v[vgprValuA_X1_I0+4+0+0+2:vgprValuA_X1_I0+4+0+0+2+1], a[152:159]
 // Ci += Ai*Br
/*  mfmaIndex:74  */
/* localReadsVacancy: latencyLeft 5 */
v_mfma_f64_16x16x4_f64 a[56+0:63+0], v[vgprValuB_X1_I0+8+0+0+2:vgprValuB_X1_I0+8+0+0+2+1], v[120:121], a[56:63]
 // Cr += -Ai*Bi
/*  mfmaIndex:75  */
/* localReadsVacancy: latencyLeft 5 */
v_mfma_f64_16x16x4_f64 a[152+0:159+0], v[vgprValuB_X1_I0+8+0+0+2:vgprValuB_X1_I0+8+0+0+2+1], v[vgprValuA_X1_I0+4+0+0:vgprValuA_X1_I0+4+0+0+1], a[152:159]
 // Ci += Ar*Bi
/*  mfmaIndex:76  */
/* localReadsVacancy: latencyLeft 5 */
v_mfma_f64_16x16x4_f64 a[80+0:87+0], v[vgprValuB_X1_I0+12+0+0:vgprValuB_X1_I0+12+0+0+1], v[vgprValuA_X1_I0+4+0+0:vgprValuA_X1_I0+4+0+0+1], a[80:87]
 // Cr += Ar*Br
/*  mfmaIndex:77  */
/* localReadsVacancy: latencyLeft 5 */
v_mfma_f64_16x16x4_f64 a[176+0:183+0], v[vgprValuB_X1_I0+12+0+0:vgprValuB_X1_I0+12+0+0+1], v[vgprValuA_X1_I0+4+0+0+2:vgprValuA_X1_I0+4+0+0+2+1], a[176:183]
 // Ci += Ai*Br
/*  mfmaIndex:78  */
/* localReadsVacancy: latencyLeft 5 */
v_mfma_f64_16x16x4_f64 a[80+0:87+0], v[vgprValuB_X1_I0+12+0+0+2:vgprValuB_X1_I0+12+0+0+2+1], v[120:121], a[80:87]
 // Cr += -Ai*Bi
/*  mfmaIndex:79  */
/* localReadsVacancy: latencyLeft 5 */
v_mfma_f64_16x16x4_f64 a[176+0:183+0], v[vgprValuB_X1_I0+12+0+0+2:vgprValuB_X1_I0+12+0+0+2+1], v[vgprValuA_X1_I0+4+0+0:vgprValuA_X1_I0+4+0+0+1], a[176:183]
 // Ci += Ar*Bi
/*  mfmaIndex:80  */
/* localReadsVacancy: latencyLeft 5 */
v_add_f64 v[120:121], -v[vgprValuA_X1_I0+8+0+0+2:vgprValuA_X1_I0+8+0+0+2+1], 0 // Ai=-Ai
v_mfma_f64_16x16x4_f64 a[16+0:23+0], v[vgprValuB_X1_I0+0+0+0:vgprValuB_X1_I0+0+0+0+1], v[vgprValuA_X1_I0+8+0+0:vgprValuA_X1_I0+8+0+0+1], a[16:23]
 // Cr += Ar*Br
/*  mfmaIndex:81  */
/* localReadsVacancy: latencyLeft 5 */
v_mfma_f64_16x16x4_f64 a[112+0:119+0], v[vgprValuB_X1_I0+0+0+0:vgprValuB_X1_I0+0+0+0+1], v[vgprValuA_X1_I0+8+0+0+2:vgprValuA_X1_I0+8+0+0+2+1], a[112:119]
 // Ci += Ai*Br
/*  mfmaIndex:82  */
/* localReadsVacancy: latencyLeft 5 */
v_mfma_f64_16x16x4_f64 a[16+0:23+0], v[vgprValuB_X1_I0+0+0+0+2:vgprValuB_X1_I0+0+0+0+2+1], v[120:121], a[16:23]
 // Cr += -Ai*Bi
/*  mfmaIndex:83  */
/* localReadsVacancy: latencyLeft 5 */
v_mfma_f64_16x16x4_f64 a[112+0:119+0], v[vgprValuB_X1_I0+0+0+0+2:vgprValuB_X1_I0+0+0+0+2+1], v[vgprValuA_X1_I0+8+0+0:vgprValuA_X1_I0+8+0+0+1], a[112:119]
 // Ci += Ar*Bi
/*  mfmaIndex:84  */
/* localReadsVacancy: latencyLeft 5 */
v_mfma_f64_16x16x4_f64 a[40+0:47+0], v[vgprValuB_X1_I0+4+0+0:vgprValuB_X1_I0+4+0+0+1], v[vgprValuA_X1_I0+8+0+0:vgprValuA_X1_I0+8+0+0+1], a[40:47]
 // Cr += Ar*Br
/*  mfmaIndex:85  */
/* localReadsVacancy: latencyLeft 5 */
v_mfma_f64_16x16x4_f64 a[136+0:143+0], v[vgprValuB_X1_I0+4+0+0:vgprValuB_X1_I0+4+0+0+1], v[vgprValuA_X1_I0+8+0+0+2:vgprValuA_X1_I0+8+0+0+2+1], a[136:143]
 // Ci += Ai*Br
/*  mfmaIndex:86  */
/* localReadsVacancy: latencyLeft 5 */
v_mfma_f64_16x16x4_f64 a[40+0:47+0], v[vgprValuB_X1_I0+4+0+0+2:vgprValuB_X1_I0+4+0+0+2+1], v[120:121], a[40:47]
 // Cr += -Ai*Bi
/*  mfmaIndex:87  */
/* localReadsVacancy: latencyLeft 5 */
v_mfma_f64_16x16x4_f64 a[136+0:143+0], v[vgprValuB_X1_I0+4+0+0+2:vgprValuB_X1_I0+4+0+0+2+1], v[vgprValuA_X1_I0+8+0+0:vgprValuA_X1_I0+8+0+0+1], a[136:143]
 // Ci += Ar*Bi
/*  mfmaIndex:88  */
/* localReadsVacancy: latencyLeft 5 */
v_mfma_f64_16x16x4_f64 a[64+0:71+0], v[vgprValuB_X1_I0+8+0+0:vgprValuB_X1_I0+8+0+0+1], v[vgprValuA_X1_I0+8+0+0:vgprValuA_X1_I0+8+0+0+1], a[64:71]
 // Cr += Ar*Br
/*  mfmaIndex:89  */
/* localReadsVacancy: latencyLeft 5 */
v_mfma_f64_16x16x4_f64 a[160+0:167+0], v[vgprValuB_X1_I0+8+0+0:vgprValuB_X1_I0+8+0+0+1], v[vgprValuA_X1_I0+8+0+0+2:vgprValuA_X1_I0+8+0+0+2+1], a[160:167]
 // Ci += Ai*Br
/*  mfmaIndex:90  */
/* localReadsVacancy: latencyLeft 5 */
v_mfma_f64_16x16x4_f64 a[64+0:71+0], v[vgprValuB_X1_I0+8+0+0+2:vgprValuB_X1_I0+8+0+0+2+1], v[120:121], a[64:71]
 // Cr += -Ai*Bi
/*  mfmaIndex:91  */
/* localReadsVacancy: latencyLeft 5 */
v_mfma_f64_16x16x4_f64 a[160+0:167+0], v[vgprValuB_X1_I0+8+0+0+2:vgprValuB_X1_I0+8+0+0+2+1], v[vgprValuA_X1_I0+8+0+0:vgprValuA_X1_I0+8+0+0+1], a[160:167]
 // Ci += Ar*Bi
/*  mfmaIndex:92  */
/* localReadsVacancy: latencyLeft 5 */
v_mfma_f64_16x16x4_f64 a[88+0:95+0], v[vgprValuB_X1_I0+12+0+0:vgprValuB_X1_I0+12+0+0+1], v[vgprValuA_X1_I0+8+0+0:vgprValuA_X1_I0+8+0+0+1], a[88:95]
 // Cr += Ar*Br
/*  mfmaIndex:93  */
/* localReadsVacancy: latencyLeft 5 */
v_mfma_f64_16x16x4_f64 a[184+0:191+0], v[vgprValuB_X1_I0+12+0+0:vgprValuB_X1_I0+12+0+0+1], v[vgprValuA_X1_I0+8+0+0+2:vgprValuA_X1_I0+8+0+0+2+1], a[184:191]
 // Ci += Ai*Br
/*  mfmaIndex:94  */
/* localReadsVacancy: latencyLeft 5 */
v_mfma_f64_16x16x4_f64 a[88+0:95+0], v[vgprValuB_X1_I0+12+0+0+2:vgprValuB_X1_I0+12+0+0+2+1], v[120:121], a[88:95]
 // Cr += -Ai*Bi
/*  mfmaIndex:95  */
/* localReadsVacancy: latencyLeft 5 */
v_mfma_f64_16x16x4_f64 a[184+0:191+0], v[vgprValuB_X1_I0+12+0+0+2:vgprValuB_X1_I0+12+0+0+2+1], v[vgprValuA_X1_I0+8+0+0:vgprValuA_X1_I0+8+0+0+1], a[184:191]
 // Ci += Ar*Bi
/* numPrefetchIter=0 */
/* dataAtIterA=0 numReadsIterA=2 skipReadsIterA=1 readsPerIterA=3 */
/* dataAtIterB=0 numReadsIterB=2 skipReadsIterB=1 readsPerIterB=4 */


/* iter 2 (last unrolled loop) */

/*  grEndMfmaIndex:0, lwStartMfmaIndex:178, lwEndMfmaIndex:178  */
/*  numMfmaForLR:11, barrierMfmaIndex:180, LocalWritePerMfma:0.190 */
/*  mfmaIndex:96  */
_ds_load_b128 v[vgprValuA_X1_I0+0:vgprValuA_X1_I0+0+3], v[vgprLocalReadAddrA] offset:192 // L -> Reg lro=12 swapByteOffset=0 ti=32 vIdx=0 rIdx=0 oIdx=0 buffer=1 iui=0
s_waitcnt lgkmcnt(1)                               // lgkmcnt=0 vmcnt=-1wait for prior local read local write old=0, new=1 newLW=0 newLR=1
v_add_f64 v[120:121], -v[vgprValuA_X0_I0+0+0+0+2:vgprValuA_X0_I0+0+0+0+2+1], 0 // Ai=-Ai
v_mfma_f64_16x16x4_f64 a[0+0:7+0], v[vgprValuB_X0_I0+0+0+0:vgprValuB_X0_I0+0+0+0+1], v[vgprValuA_X0_I0+0+0+0:vgprValuA_X0_I0+0+0+0+1], a[0:7]
 // Cr += Ar*Br
/*  mfmaIndex:97  */
_ds_load_b128 v[vgprValuB_X1_I0+0:vgprValuB_X1_I0+0+3], v[vgprLocalReadAddrB] offset:24576 // L -> Reg lro=1536 swapByteOffset=0 ti=32 vIdx=0 rIdx=0 oIdx=0 buffer=1 iui=0
v_mfma_f64_16x16x4_f64 a[96+0:103+0], v[vgprValuB_X0_I0+0+0+0:vgprValuB_X0_I0+0+0+0+1], v[vgprValuA_X0_I0+0+0+0+2:vgprValuA_X0_I0+0+0+0+2+1], a[96:103]
 // Ci += Ai*Br
/*  mfmaIndex:98  */
_ds_load_b128 v[vgprValuA_X1_I0+4:vgprValuA_X1_I0+4+3], v[vgprLocalReadAddrA] offset:9408 // L -> Reg lro=12 swapByteOffset=0 ti=32 vIdx=1 rIdx=0 oIdx=0 buffer=1 iui=0
v_mfma_f64_16x16x4_f64 a[0+0:7+0], v[vgprValuB_X0_I0+0+0+0+2:vgprValuB_X0_I0+0+0+0+2+1], v[120:121], a[0:7]
 // Cr += -Ai*Bi
/*  mfmaIndex:99  */
_ds_load_b128 v[vgprValuA_X1_I0+8:vgprValuA_X1_I0+8+3], v[vgprLocalReadAddrA] offset:18624 // L -> Reg lro=12 swapByteOffset=0 ti=32 vIdx=2 rIdx=0 oIdx=0 buffer=1 iui=0
v_mfma_f64_16x16x4_f64 a[96+0:103+0], v[vgprValuB_X0_I0+0+0+0+2:vgprValuB_X0_I0+0+0+0+2+1], v[vgprValuA_X0_I0+0+0+0:vgprValuA_X0_I0+0+0+0+1], a[96:103]
 // Ci += Ar*Bi
/*  mfmaIndex:100  */
_ds_load_b128 v[vgprValuB_X1_I0+4:vgprValuB_X1_I0+4+3], v[vgprLocalReadAddrB] offset:25088 // L -> Reg lro=1536 swapByteOffset=0 ti=32 vIdx=1 rIdx=0 oIdx=0 buffer=1 iui=0
v_mfma_f64_16x16x4_f64 a[24+0:31+0], v[vgprValuB_X0_I0+4+0+0:vgprValuB_X0_I0+4+0+0+1], v[vgprValuA_X0_I0+0+0+0:vgprValuA_X0_I0+0+0+0+1], a[24:31]
 // Cr += Ar*Br
/*  mfmaIndex:101  */
_ds_load_b128 v[vgprValuB_X1_I0+8:vgprValuB_X1_I0+8+3], v[vgprLocalReadAddrB] offset:25600 // L -> Reg lro=1536 swapByteOffset=0 ti=32 vIdx=2 rIdx=0 oIdx=0 buffer=1 iui=0
v_mfma_f64_16x16x4_f64 a[120+0:127+0], v[vgprValuB_X0_I0+4+0+0:vgprValuB_X0_I0+4+0+0+1], v[vgprValuA_X0_I0+0+0+0+2:vgprValuA_X0_I0+0+0+0+2+1], a[120:127]
 // Ci += Ai*Br
/*  mfmaIndex:102  */
_ds_load_b128 v[vgprValuB_X1_I0+12:vgprValuB_X1_I0+12+3], v[vgprLocalReadAddrB] offset:26112 // L -> Reg lro=1536 swapByteOffset=0 ti=32 vIdx=3 rIdx=0 oIdx=0 buffer=1 iui=0
/* localReadsVacancy: latencyLeft 1 */
v_mfma_f64_16x16x4_f64 a[24+0:31+0], v[vgprValuB_X0_I0+4+0+0+2:vgprValuB_X0_I0+4+0+0+2+1], v[120:121], a[24:31]
 // Cr += -Ai*Bi
/*  mfmaIndex:103  */
/* localReadsVacancy: latencyLeft 5 */
v_mfma_f64_16x16x4_f64 a[120+0:127+0], v[vgprValuB_X0_I0+4+0+0+2:vgprValuB_X0_I0+4+0+0+2+1], v[vgprValuA_X0_I0+0+0+0:vgprValuA_X0_I0+0+0+0+1], a[120:127]
 // Ci += Ar*Bi
/*  mfmaIndex:104  */
/* localReadsVacancy: latencyLeft 5 */
v_mfma_f64_16x16x4_f64 a[48+0:55+0], v[vgprValuB_X0_I0+8+0+0:vgprValuB_X0_I0+8+0+0+1], v[vgprValuA_X0_I0+0+0+0:vgprValuA_X0_I0+0+0+0+1], a[48:55]
 // Cr += Ar*Br
/*  mfmaIndex:105  */
/* localReadsVacancy: latencyLeft 5 */
v_mfma_f64_16x16x4_f64 a[144+0:151+0], v[vgprValuB_X0_I0+8+0+0:vgprValuB_X0_I0+8+0+0+1], v[vgprValuA_X0_I0+0+0+0+2:vgprValuA_X0_I0+0+0+0+2+1], a[144:151]
 // Ci += Ai*Br
/*  mfmaIndex:106  */
/* localReadsVacancy: latencyLeft 5 */
v_mfma_f64_16x16x4_f64 a[48+0:55+0], v[vgprValuB_X0_I0+8+0+0+2:vgprValuB_X0_I0+8+0+0+2+1], v[120:121], a[48:55]
 // Cr += -Ai*Bi
/*  mfmaIndex:107  */
/* localReadsVacancy: latencyLeft 5 */
v_mfma_f64_16x16x4_f64 a[144+0:151+0], v[vgprValuB_X0_I0+8+0+0+2:vgprValuB_X0_I0+8+0+0+2+1], v[vgprValuA_X0_I0+0+0+0:vgprValuA_X0_I0+0+0+0+1], a[144:151]
 // Ci += Ar*Bi
/*  mfmaIndex:108  */
/* localReadsVacancy: latencyLeft 5 */
v_mfma_f64_16x16x4_f64 a[72+0:79+0], v[vgprValuB_X0_I0+12+0+0:vgprValuB_X0_I0+12+0+0+1], v[vgprValuA_X0_I0+0+0+0:vgprValuA_X0_I0+0+0+0+1], a[72:79]
 // Cr += Ar*Br
/*  mfmaIndex:109  */
/* localReadsVacancy: latencyLeft 5 */
v_mfma_f64_16x16x4_f64 a[168+0:175+0], v[vgprValuB_X0_I0+12+0+0:vgprValuB_X0_I0+12+0+0+1], v[vgprValuA_X0_I0+0+0+0+2:vgprValuA_X0_I0+0+0+0+2+1], a[168:175]
 // Ci += Ai*Br
/*  mfmaIndex:110  */
/* localReadsVacancy: latencyLeft 5 */
v_mfma_f64_16x16x4_f64 a[72+0:79+0], v[vgprValuB_X0_I0+12+0+0+2:vgprValuB_X0_I0+12+0+0+2+1], v[120:121], a[72:79]
 // Cr += -Ai*Bi
/*  mfmaIndex:111  */
/* localReadsVacancy: latencyLeft 5 */
v_mfma_f64_16x16x4_f64 a[168+0:175+0], v[vgprValuB_X0_I0+12+0+0+2:vgprValuB_X0_I0+12+0+0+2+1], v[vgprValuA_X0_I0+0+0+0:vgprValuA_X0_I0+0+0+0+1], a[168:175]
 // Ci += Ar*Bi
/*  mfmaIndex:112  */
/* localReadsVacancy: latencyLeft 5 */
v_add_f64 v[120:121], -v[vgprValuA_X0_I0+4+0+0+2:vgprValuA_X0_I0+4+0+0+2+1], 0 // Ai=-Ai
v_mfma_f64_16x16x4_f64 a[8+0:15+0], v[vgprValuB_X0_I0+0+0+0:vgprValuB_X0_I0+0+0+0+1], v[vgprValuA_X0_I0+4+0+0:vgprValuA_X0_I0+4+0+0+1], a[8:15]
 // Cr += Ar*Br
/*  mfmaIndex:113  */
/* localReadsVacancy: latencyLeft 5 */
v_mfma_f64_16x16x4_f64 a[104+0:111+0], v[vgprValuB_X0_I0+0+0+0:vgprValuB_X0_I0+0+0+0+1], v[vgprValuA_X0_I0+4+0+0+2:vgprValuA_X0_I0+4+0+0+2+1], a[104:111]
 // Ci += Ai*Br
/*  mfmaIndex:114  */
/* localReadsVacancy: latencyLeft 5 */
v_mfma_f64_16x16x4_f64 a[8+0:15+0], v[vgprValuB_X0_I0+0+0+0+2:vgprValuB_X0_I0+0+0+0+2+1], v[120:121], a[8:15]
 // Cr += -Ai*Bi
/*  mfmaIndex:115  */
/* localReadsVacancy: latencyLeft 5 */
v_mfma_f64_16x16x4_f64 a[104+0:111+0], v[vgprValuB_X0_I0+0+0+0+2:vgprValuB_X0_I0+0+0+0+2+1], v[vgprValuA_X0_I0+4+0+0:vgprValuA_X0_I0+4+0+0+1], a[104:111]
 // Ci += Ar*Bi
/*  mfmaIndex:116  */
/* localReadsVacancy: latencyLeft 5 */
v_mfma_f64_16x16x4_f64 a[32+0:39+0], v[vgprValuB_X0_I0+4+0+0:vgprValuB_X0_I0+4+0+0+1], v[vgprValuA_X0_I0+4+0+0:vgprValuA_X0_I0+4+0+0+1], a[32:39]
 // Cr += Ar*Br
/*  mfmaIndex:117  */
/* localReadsVacancy: latencyLeft 5 */
v_mfma_f64_16x16x4_f64 a[128+0:135+0], v[vgprValuB_X0_I0+4+0+0:vgprValuB_X0_I0+4+0+0+1], v[vgprValuA_X0_I0+4+0+0+2:vgprValuA_X0_I0+4+0+0+2+1], a[128:135]
 // Ci += Ai*Br
/*  mfmaIndex:118  */
/* localReadsVacancy: latencyLeft 5 */
v_mfma_f64_16x16x4_f64 a[32+0:39+0], v[vgprValuB_X0_I0+4+0+0+2:vgprValuB_X0_I0+4+0+0+2+1], v[120:121], a[32:39]
 // Cr += -Ai*Bi
/*  mfmaIndex:119  */
/* localReadsVacancy: latencyLeft 5 */
v_mfma_f64_16x16x4_f64 a[128+0:135+0], v[vgprValuB_X0_I0+4+0+0+2:vgprValuB_X0_I0+4+0+0+2+1], v[vgprValuA_X0_I0+4+0+0:vgprValuA_X0_I0+4+0+0+1], a[128:135]
 // Ci += Ar*Bi
/*  mfmaIndex:120  */
/* localReadsVacancy: latencyLeft 5 */
	;; [unrolled: 16-line block ×4, first 2 shown]
v_add_f64 v[120:121], -v[vgprValuA_X0_I0+8+0+0+2:vgprValuA_X0_I0+8+0+0+2+1], 0 // Ai=-Ai
v_mfma_f64_16x16x4_f64 a[16+0:23+0], v[vgprValuB_X0_I0+0+0+0:vgprValuB_X0_I0+0+0+0+1], v[vgprValuA_X0_I0+8+0+0:vgprValuA_X0_I0+8+0+0+1], a[16:23]
 // Cr += Ar*Br
/*  mfmaIndex:129  */
/* localReadsVacancy: latencyLeft 5 */
v_mfma_f64_16x16x4_f64 a[112+0:119+0], v[vgprValuB_X0_I0+0+0+0:vgprValuB_X0_I0+0+0+0+1], v[vgprValuA_X0_I0+8+0+0+2:vgprValuA_X0_I0+8+0+0+2+1], a[112:119]
 // Ci += Ai*Br
/*  mfmaIndex:130  */
/* localReadsVacancy: latencyLeft 5 */
v_mfma_f64_16x16x4_f64 a[16+0:23+0], v[vgprValuB_X0_I0+0+0+0+2:vgprValuB_X0_I0+0+0+0+2+1], v[120:121], a[16:23]
 // Cr += -Ai*Bi
/*  mfmaIndex:131  */
/* localReadsVacancy: latencyLeft 5 */
v_mfma_f64_16x16x4_f64 a[112+0:119+0], v[vgprValuB_X0_I0+0+0+0+2:vgprValuB_X0_I0+0+0+0+2+1], v[vgprValuA_X0_I0+8+0+0:vgprValuA_X0_I0+8+0+0+1], a[112:119]
 // Ci += Ar*Bi
/*  mfmaIndex:132  */
/* localReadsVacancy: latencyLeft 5 */
v_mfma_f64_16x16x4_f64 a[40+0:47+0], v[vgprValuB_X0_I0+4+0+0:vgprValuB_X0_I0+4+0+0+1], v[vgprValuA_X0_I0+8+0+0:vgprValuA_X0_I0+8+0+0+1], a[40:47]
 // Cr += Ar*Br
/*  mfmaIndex:133  */
/* localReadsVacancy: latencyLeft 5 */
v_mfma_f64_16x16x4_f64 a[136+0:143+0], v[vgprValuB_X0_I0+4+0+0:vgprValuB_X0_I0+4+0+0+1], v[vgprValuA_X0_I0+8+0+0+2:vgprValuA_X0_I0+8+0+0+2+1], a[136:143]
 // Ci += Ai*Br
/*  mfmaIndex:134  */
/* localReadsVacancy: latencyLeft 5 */
v_mfma_f64_16x16x4_f64 a[40+0:47+0], v[vgprValuB_X0_I0+4+0+0+2:vgprValuB_X0_I0+4+0+0+2+1], v[120:121], a[40:47]
 // Cr += -Ai*Bi
/*  mfmaIndex:135  */
/* localReadsVacancy: latencyLeft 5 */
v_mfma_f64_16x16x4_f64 a[136+0:143+0], v[vgprValuB_X0_I0+4+0+0+2:vgprValuB_X0_I0+4+0+0+2+1], v[vgprValuA_X0_I0+8+0+0:vgprValuA_X0_I0+8+0+0+1], a[136:143]
 // Ci += Ar*Bi
/*  mfmaIndex:136  */
/* localReadsVacancy: latencyLeft 5 */
	;; [unrolled: 16-line block ×3, first 2 shown]
v_mfma_f64_16x16x4_f64 a[88+0:95+0], v[vgprValuB_X0_I0+12+0+0:vgprValuB_X0_I0+12+0+0+1], v[vgprValuA_X0_I0+8+0+0:vgprValuA_X0_I0+8+0+0+1], a[88:95]
 // Cr += Ar*Br
/*  mfmaIndex:141  */
/* localReadsVacancy: latencyLeft 5 */
v_mfma_f64_16x16x4_f64 a[184+0:191+0], v[vgprValuB_X0_I0+12+0+0:vgprValuB_X0_I0+12+0+0+1], v[vgprValuA_X0_I0+8+0+0+2:vgprValuA_X0_I0+8+0+0+2+1], a[184:191]
 // Ci += Ai*Br
/*  mfmaIndex:142  */
/* localReadsVacancy: latencyLeft 5 */
v_mfma_f64_16x16x4_f64 a[88+0:95+0], v[vgprValuB_X0_I0+12+0+0+2:vgprValuB_X0_I0+12+0+0+2+1], v[120:121], a[88:95]
 // Cr += -Ai*Bi
/*  mfmaIndex:143  */
/* localReadsVacancy: latencyLeft 5 */
v_mfma_f64_16x16x4_f64 a[184+0:191+0], v[vgprValuB_X0_I0+12+0+0+2:vgprValuB_X0_I0+12+0+0+2+1], v[vgprValuA_X0_I0+8+0+0:vgprValuA_X0_I0+8+0+0+1], a[184:191]
 // Ci += Ar*Bi
/* numPrefetchIter=0 */
/* dataAtIterA=1 numReadsIterA=3 skipReadsIterA=1 readsPerIterA=3 */
/* dataAtIterB=1 numReadsIterB=3 skipReadsIterB=1 readsPerIterB=4 */


/* iter 3 (last unrolled loop) */

/*  grEndMfmaIndex:0, lwStartMfmaIndex:178, lwEndMfmaIndex:178  */
/*  numMfmaForLR:11, barrierMfmaIndex:180, LocalWritePerMfma:0.190 */
/*  mfmaIndex:144  */
s_waitcnt lgkmcnt(0)                               // lgkmcnt=0 vmcnt=-1wait for prior local read local write old=0, new=0 newLW=0 newLR=0
v_add_f64 v[120:121], -v[vgprValuA_X1_I0+0+0+0+2:vgprValuA_X1_I0+0+0+0+2+1], 0 // Ai=-Ai
v_mfma_f64_16x16x4_f64 a[0+0:7+0], v[vgprValuB_X1_I0+0+0+0:vgprValuB_X1_I0+0+0+0+1], v[vgprValuA_X1_I0+0+0+0:vgprValuA_X1_I0+0+0+0+1], a[0:7]
 // Cr += Ar*Br
/*  mfmaIndex:145  */
v_mfma_f64_16x16x4_f64 a[96+0:103+0], v[vgprValuB_X1_I0+0+0+0:vgprValuB_X1_I0+0+0+0+1], v[vgprValuA_X1_I0+0+0+0+2:vgprValuA_X1_I0+0+0+0+2+1], a[96:103]
 // Ci += Ai*Br
/*  mfmaIndex:146  */
v_mfma_f64_16x16x4_f64 a[0+0:7+0], v[vgprValuB_X1_I0+0+0+0+2:vgprValuB_X1_I0+0+0+0+2+1], v[120:121], a[0:7]
 // Cr += -Ai*Bi
/*  mfmaIndex:147  */
v_mfma_f64_16x16x4_f64 a[96+0:103+0], v[vgprValuB_X1_I0+0+0+0+2:vgprValuB_X1_I0+0+0+0+2+1], v[vgprValuA_X1_I0+0+0+0:vgprValuA_X1_I0+0+0+0+1], a[96:103]
 // Ci += Ar*Bi
/*  mfmaIndex:148  */
v_mfma_f64_16x16x4_f64 a[24+0:31+0], v[vgprValuB_X1_I0+4+0+0:vgprValuB_X1_I0+4+0+0+1], v[vgprValuA_X1_I0+0+0+0:vgprValuA_X1_I0+0+0+0+1], a[24:31]
 // Cr += Ar*Br
/*  mfmaIndex:149  */
v_mfma_f64_16x16x4_f64 a[120+0:127+0], v[vgprValuB_X1_I0+4+0+0:vgprValuB_X1_I0+4+0+0+1], v[vgprValuA_X1_I0+0+0+0+2:vgprValuA_X1_I0+0+0+0+2+1], a[120:127]
 // Ci += Ai*Br
/*  mfmaIndex:150  */
v_mfma_f64_16x16x4_f64 a[24+0:31+0], v[vgprValuB_X1_I0+4+0+0+2:vgprValuB_X1_I0+4+0+0+2+1], v[120:121], a[24:31]
 // Cr += -Ai*Bi
/*  mfmaIndex:151  */
v_mfma_f64_16x16x4_f64 a[120+0:127+0], v[vgprValuB_X1_I0+4+0+0+2:vgprValuB_X1_I0+4+0+0+2+1], v[vgprValuA_X1_I0+0+0+0:vgprValuA_X1_I0+0+0+0+1], a[120:127]
 // Ci += Ar*Bi
/*  mfmaIndex:152  */
v_mfma_f64_16x16x4_f64 a[48+0:55+0], v[vgprValuB_X1_I0+8+0+0:vgprValuB_X1_I0+8+0+0+1], v[vgprValuA_X1_I0+0+0+0:vgprValuA_X1_I0+0+0+0+1], a[48:55]
 // Cr += Ar*Br
/*  mfmaIndex:153  */
v_mfma_f64_16x16x4_f64 a[144+0:151+0], v[vgprValuB_X1_I0+8+0+0:vgprValuB_X1_I0+8+0+0+1], v[vgprValuA_X1_I0+0+0+0+2:vgprValuA_X1_I0+0+0+0+2+1], a[144:151]
 // Ci += Ai*Br
/*  mfmaIndex:154  */
v_mfma_f64_16x16x4_f64 a[48+0:55+0], v[vgprValuB_X1_I0+8+0+0+2:vgprValuB_X1_I0+8+0+0+2+1], v[120:121], a[48:55]
 // Cr += -Ai*Bi
/*  mfmaIndex:155  */
v_mfma_f64_16x16x4_f64 a[144+0:151+0], v[vgprValuB_X1_I0+8+0+0+2:vgprValuB_X1_I0+8+0+0+2+1], v[vgprValuA_X1_I0+0+0+0:vgprValuA_X1_I0+0+0+0+1], a[144:151]
 // Ci += Ar*Bi
/*  mfmaIndex:156  */
v_mfma_f64_16x16x4_f64 a[72+0:79+0], v[vgprValuB_X1_I0+12+0+0:vgprValuB_X1_I0+12+0+0+1], v[vgprValuA_X1_I0+0+0+0:vgprValuA_X1_I0+0+0+0+1], a[72:79]
 // Cr += Ar*Br
/*  mfmaIndex:157  */
v_mfma_f64_16x16x4_f64 a[168+0:175+0], v[vgprValuB_X1_I0+12+0+0:vgprValuB_X1_I0+12+0+0+1], v[vgprValuA_X1_I0+0+0+0+2:vgprValuA_X1_I0+0+0+0+2+1], a[168:175]
 // Ci += Ai*Br
/*  mfmaIndex:158  */
v_mfma_f64_16x16x4_f64 a[72+0:79+0], v[vgprValuB_X1_I0+12+0+0+2:vgprValuB_X1_I0+12+0+0+2+1], v[120:121], a[72:79]
 // Cr += -Ai*Bi
/*  mfmaIndex:159  */
v_mfma_f64_16x16x4_f64 a[168+0:175+0], v[vgprValuB_X1_I0+12+0+0+2:vgprValuB_X1_I0+12+0+0+2+1], v[vgprValuA_X1_I0+0+0+0:vgprValuA_X1_I0+0+0+0+1], a[168:175]
 // Ci += Ar*Bi
/*  mfmaIndex:160  */
v_add_f64 v[120:121], -v[vgprValuA_X1_I0+4+0+0+2:vgprValuA_X1_I0+4+0+0+2+1], 0 // Ai=-Ai
v_mfma_f64_16x16x4_f64 a[8+0:15+0], v[vgprValuB_X1_I0+0+0+0:vgprValuB_X1_I0+0+0+0+1], v[vgprValuA_X1_I0+4+0+0:vgprValuA_X1_I0+4+0+0+1], a[8:15]
 // Cr += Ar*Br
/*  mfmaIndex:161  */
v_mfma_f64_16x16x4_f64 a[104+0:111+0], v[vgprValuB_X1_I0+0+0+0:vgprValuB_X1_I0+0+0+0+1], v[vgprValuA_X1_I0+4+0+0+2:vgprValuA_X1_I0+4+0+0+2+1], a[104:111]
 // Ci += Ai*Br
/*  mfmaIndex:162  */
v_mfma_f64_16x16x4_f64 a[8+0:15+0], v[vgprValuB_X1_I0+0+0+0+2:vgprValuB_X1_I0+0+0+0+2+1], v[120:121], a[8:15]
 // Cr += -Ai*Bi
/*  mfmaIndex:163  */
v_mfma_f64_16x16x4_f64 a[104+0:111+0], v[vgprValuB_X1_I0+0+0+0+2:vgprValuB_X1_I0+0+0+0+2+1], v[vgprValuA_X1_I0+4+0+0:vgprValuA_X1_I0+4+0+0+1], a[104:111]
 // Ci += Ar*Bi
/*  mfmaIndex:164  */
v_mfma_f64_16x16x4_f64 a[32+0:39+0], v[vgprValuB_X1_I0+4+0+0:vgprValuB_X1_I0+4+0+0+1], v[vgprValuA_X1_I0+4+0+0:vgprValuA_X1_I0+4+0+0+1], a[32:39]
 // Cr += Ar*Br
/*  mfmaIndex:165  */
v_mfma_f64_16x16x4_f64 a[128+0:135+0], v[vgprValuB_X1_I0+4+0+0:vgprValuB_X1_I0+4+0+0+1], v[vgprValuA_X1_I0+4+0+0+2:vgprValuA_X1_I0+4+0+0+2+1], a[128:135]
 // Ci += Ai*Br
/*  mfmaIndex:166  */
v_mfma_f64_16x16x4_f64 a[32+0:39+0], v[vgprValuB_X1_I0+4+0+0+2:vgprValuB_X1_I0+4+0+0+2+1], v[120:121], a[32:39]
 // Cr += -Ai*Bi
/*  mfmaIndex:167  */
v_mfma_f64_16x16x4_f64 a[128+0:135+0], v[vgprValuB_X1_I0+4+0+0+2:vgprValuB_X1_I0+4+0+0+2+1], v[vgprValuA_X1_I0+4+0+0:vgprValuA_X1_I0+4+0+0+1], a[128:135]
 // Ci += Ar*Bi
/*  mfmaIndex:168  */
	;; [unrolled: 12-line block ×4, first 2 shown]
v_add_f64 v[120:121], -v[vgprValuA_X1_I0+8+0+0+2:vgprValuA_X1_I0+8+0+0+2+1], 0 // Ai=-Ai
v_mfma_f64_16x16x4_f64 a[16+0:23+0], v[vgprValuB_X1_I0+0+0+0:vgprValuB_X1_I0+0+0+0+1], v[vgprValuA_X1_I0+8+0+0:vgprValuA_X1_I0+8+0+0+1], a[16:23]
 // Cr += Ar*Br
/*  mfmaIndex:177  */
/* 1 LDS buffer: read-sync-write */
s_waitcnt lgkmcnt(0)                               // 
s_barrier                                          // 
v_mfma_f64_16x16x4_f64 a[112+0:119+0], v[vgprValuB_X1_I0+0+0+0:vgprValuB_X1_I0+0+0+0+1], v[vgprValuA_X1_I0+8+0+0+2:vgprValuA_X1_I0+8+0+0+2+1], a[112:119]
 // Ci += Ai*Br
/*  mfmaIndex:178  */
s_setprio 3                                        // store optimization
v_mfma_f64_16x16x4_f64 a[16+0:23+0], v[vgprValuB_X1_I0+0+0+0+2:vgprValuB_X1_I0+0+0+0+2+1], v[120:121], a[16:23]
 // Cr += -Ai*Bi
/*  mfmaIndex:179  */
v_mfma_f64_16x16x4_f64 a[112+0:119+0], v[vgprValuB_X1_I0+0+0+0+2:vgprValuB_X1_I0+0+0+0+2+1], v[vgprValuA_X1_I0+8+0+0:vgprValuA_X1_I0+8+0+0+1], a[112:119]
 // Ci += Ar*Bi
s_setprio 0                                        // store optimization
/*  mfmaIndex:180  */
v_mfma_f64_16x16x4_f64 a[40+0:47+0], v[vgprValuB_X1_I0+4+0+0:vgprValuB_X1_I0+4+0+0+1], v[vgprValuA_X1_I0+8+0+0:vgprValuA_X1_I0+8+0+0+1], a[40:47]
 // Cr += Ar*Br
/*  mfmaIndex:181  */
s_setprio 3                                        // store optimization
v_mfma_f64_16x16x4_f64 a[136+0:143+0], v[vgprValuB_X1_I0+4+0+0:vgprValuB_X1_I0+4+0+0+1], v[vgprValuA_X1_I0+8+0+0+2:vgprValuA_X1_I0+8+0+0+2+1], a[136:143]
 // Ci += Ai*Br
/*  mfmaIndex:182  */
v_mfma_f64_16x16x4_f64 a[40+0:47+0], v[vgprValuB_X1_I0+4+0+0+2:vgprValuB_X1_I0+4+0+0+2+1], v[120:121], a[40:47]
 // Cr += -Ai*Bi
/*  mfmaIndex:183  */
v_mfma_f64_16x16x4_f64 a[136+0:143+0], v[vgprValuB_X1_I0+4+0+0+2:vgprValuB_X1_I0+4+0+0+2+1], v[vgprValuA_X1_I0+8+0+0:vgprValuA_X1_I0+8+0+0+1], a[136:143]
 // Ci += Ar*Bi
/*  mfmaIndex:184  */
v_mfma_f64_16x16x4_f64 a[64+0:71+0], v[vgprValuB_X1_I0+8+0+0:vgprValuB_X1_I0+8+0+0+1], v[vgprValuA_X1_I0+8+0+0:vgprValuA_X1_I0+8+0+0+1], a[64:71]
 // Cr += Ar*Br
/*  mfmaIndex:185  */
v_mfma_f64_16x16x4_f64 a[160+0:167+0], v[vgprValuB_X1_I0+8+0+0:vgprValuB_X1_I0+8+0+0+1], v[vgprValuA_X1_I0+8+0+0+2:vgprValuA_X1_I0+8+0+0+2+1], a[160:167]
 // Ci += Ai*Br
/*  mfmaIndex:186  */
v_mfma_f64_16x16x4_f64 a[64+0:71+0], v[vgprValuB_X1_I0+8+0+0+2:vgprValuB_X1_I0+8+0+0+2+1], v[120:121], a[64:71]
 // Cr += -Ai*Bi
/*  mfmaIndex:187  */
v_mfma_f64_16x16x4_f64 a[160+0:167+0], v[vgprValuB_X1_I0+8+0+0+2:vgprValuB_X1_I0+8+0+0+2+1], v[vgprValuA_X1_I0+8+0+0:vgprValuA_X1_I0+8+0+0+1], a[160:167]
 // Ci += Ar*Bi
/*  mfmaIndex:188  */
v_mfma_f64_16x16x4_f64 a[88+0:95+0], v[vgprValuB_X1_I0+12+0+0:vgprValuB_X1_I0+12+0+0+1], v[vgprValuA_X1_I0+8+0+0:vgprValuA_X1_I0+8+0+0+1], a[88:95]
 // Cr += Ar*Br
/*  mfmaIndex:189  */
v_mfma_f64_16x16x4_f64 a[184+0:191+0], v[vgprValuB_X1_I0+12+0+0:vgprValuB_X1_I0+12+0+0+1], v[vgprValuA_X1_I0+8+0+0+2:vgprValuA_X1_I0+8+0+0+2+1], a[184:191]
 // Ci += Ai*Br
/*  mfmaIndex:190  */
v_mfma_f64_16x16x4_f64 a[88+0:95+0], v[vgprValuB_X1_I0+12+0+0+2:vgprValuB_X1_I0+12+0+0+2+1], v[120:121], a[88:95]
 // Cr += -Ai*Bi
/*  mfmaIndex:191  */
v_mfma_f64_16x16x4_f64 a[184+0:191+0], v[vgprValuB_X1_I0+12+0+0+2:vgprValuB_X1_I0+12+0+0+2+1], v[vgprValuA_X1_I0+8+0+0:vgprValuA_X1_I0+8+0+0+1], a[184:191]
 // Ci += Ar*Bi
/* numPrefetchIter=0 */
/* dataAtIterA=2 numReadsIterA=3 skipReadsIterA=0 readsPerIterA=3 */
/* dataAtIterB=2 numReadsIterB=3 skipReadsIterB=0 readsPerIterB=4 */

/* Stores for OptNLL */
Summation_End_OptNLL_18:
s_setprio 0                                        // optimization store
/* endSummation: add vgpr [0...116) to pool */
.set NumFullBlocks, UNDEF
.set WgmRemainder1, UNDEF
.set MagicNumberWgmRemainder1, UNDEF
.set ScalarGlobalReadOffsetA, UNDEF
.set ScalarGlobalReadOffsetB, UNDEF

/* Mapping of Acc register -> C Vgpr register */
/* computeStoreVgprs */
v_lshrrev_b32 v4, 6, v[vgprSerial]                 // v4 = v[vgprSerial] / 64
v_and_b32 v1, 63, v[vgprSerial]                    // v1 = v[vgprSerial] % 64
v_lshrrev_b32 v1, 4, v1                            // v1 = v1 / 16
                                                   // thread0 * continuous_output (multiplier is 1, do nothing)
v_lshrrev_b32 v5, 1, v4                            // v5 = v4 / 2
v_mul_lo_u32 v5, 0x10, v5                          // wave coordination offset 1
_v_add_lshl_u32 v1, v5, v1, 0                      // coordination 1 = vwb *(wave_id1 + tid1)
v_mul_lo_u32 v2, v1, s[sgprStrideC1J]              //  offset 1
v_mul_lo_u32 v3, v1, s[sgprStrideD1J]              //  offset 1
v_and_b32 v5, 1, v4                                // v5 = v4 % 2
v_mul_lo_u32 v5, 0x10, v5                          // wave coordination offset 0
v_and_b32 v0, 15, v[vgprSerial]                    // v0 = v[vgprSerial] % 16
_v_add_lshl_u32 v0, v5, v0, 0                      // coordination 0 = vwa *(wave_id0 + tid0)
s_mul_i32 s59, 96, s[sgprWorkGroup0]               // wgp0 * MT0
_v_add_u32 v0, s59, v0                             // coord 0 = (tid0/MI_m)*4 + waveG0*MIB_m + MT0*SG0
s_mul_i32 s59, 128, s[sgprWorkGroup1]              // wgp1 * MT1
_v_add_u32 v1, s59, v1                             // coord 1 = (tid0%MI_m) + waveG1*MIB_n + MT1*SG1
GW_B0_E0_21:

/* edge=0, allocate 2 sgpr. perBatchTmpS=2 perBatchMaskS=0 perElementMaskS=0 elementsPerBatch=2 */
/* optSingleColVgpr=1 optSharedColVgpr=0 optSGPRUsage=BufferLoad_Mask optSrdIncForRow=1 */
s_sleep 3 // optimization: sync and wait
s_barrier

/******************************************/
/* Global Write Batch #0 (d1,d0,vc1,vc0) = */
/*    (0,0,0,0:vw1); (0,1,0,0:vw1)        */
/******************************************/

/* calc coords, apply mask, and issue loads (if necessary) */
/* (d1,vc1,d0,vc0)=(0,0,0,0) */
/* (d1,vc1,d0,vc0)=(0,0,1,0) */
_v_add_lshl_u32 v6, v3, v0, 0x4                    // optSingleColVgpr scaleToBpe: sharedAddrVgpr <- cinRowPtr + coord0, scaled by BPE. BSHERE:coord0=0, coord0Vgpr=0
v_accvgpr_read_b32 v[vgprValuC+8], acc0 // copy acc to vreg[0]
v_accvgpr_read_b32 v[vgprValuC+9], acc1 // copy acc to vreg[1]
v_accvgpr_read_b32 v[vgprValuC+10], acc96 // copy acc to vreg[2]
v_accvgpr_read_b32 v[vgprValuC+11], acc97 // copy acc to vreg[3]
v_accvgpr_read_b32 v[vgprValuC+12], acc8 // copy acc to vreg[4]
v_accvgpr_read_b32 v[vgprValuC+13], acc9 // copy acc to vreg[5]
v_accvgpr_read_b32 v[vgprValuC+14], acc104 // copy acc to vreg[6]
v_accvgpr_read_b32 v[vgprValuC+15], acc105 // copy acc to vreg[7]
s_nop 1                                            // 2 wait states required before reading vgpr

/* apply mask, calc new C and issue writes */
_buffer_store_b128 v[8:11], v6, s[sgprSrdD:sgprSrdD+3], 0, offen, offset:0,  nt // store D
_buffer_store_b128 v[12:15], v6, s[sgprSrdD:sgprSrdD+3], 0, offen, offset:512,  nt // store D
s_nop 0                                            // 1 wait state required when next inst writes vgprs held by previous dwordx4 store inst
/* optSingleColVgpr=1 optSharedColVgpr=0 optSGPRUsage=BufferLoad_Mask optSrdIncForRow=1 */
s_sleep 3 // optimization: sync and wait
s_barrier

/******************************************/
/* Global Write Batch #1 (d1,d0,vc1,vc0) = */
/*    (0,2,0,0:vw1); (1,0,0,0:vw1)        */
/******************************************/

/* calc coords, apply mask, and issue loads (if necessary) */
/* (d1,vc1,d0,vc0)=(0,0,2,0) */
/* (d1,vc1,d0,vc0)=(1,0,0,0) */
v_accvgpr_read_b32 v[vgprValuC+8], acc16 // copy acc to vreg[8]
v_accvgpr_read_b32 v[vgprValuC+9], acc17 // copy acc to vreg[9]
v_accvgpr_read_b32 v[vgprValuC+10], acc112 // copy acc to vreg[10]
v_accvgpr_read_b32 v[vgprValuC+11], acc113 // copy acc to vreg[11]
v_accvgpr_read_b32 v[vgprValuC+12], acc2 // copy acc to vreg[12]
v_accvgpr_read_b32 v[vgprValuC+13], acc3 // copy acc to vreg[13]
v_accvgpr_read_b32 v[vgprValuC+14], acc98 // copy acc to vreg[14]
v_accvgpr_read_b32 v[vgprValuC+15], acc99 // copy acc to vreg[15]
s_nop 1                                            // 2 wait states required before reading vgpr

/* apply mask, calc new C and issue writes */
_buffer_store_b128 v[8:11], v6, s[sgprSrdD:sgprSrdD+3], 0, offen, offset:1024,  nt // store D
s_mul_i32 s60, s[sgprStrideD1J], 64                // scale StrideD *= numRows(4) * bpe
s_add_u32  s[sgprSrdD+0], s[sgprSrdD+0], s60       // incToNextRow: gra SRD += inc(lower)
s_addc_u32  s[sgprSrdD+1], s[sgprSrdD+1], 0        // incToNextRow: gra SRD += inc(upper)
_buffer_store_b128 v[12:15], v6, s[sgprSrdD:sgprSrdD+3], 0, offen, offset:0,  nt // store D
s_nop 0                                            // 1 wait state required when next inst writes vgprs held by previous dwordx4 store inst
/* optSingleColVgpr=1 optSharedColVgpr=0 optSGPRUsage=BufferLoad_Mask optSrdIncForRow=1 */
s_sleep 3 // optimization: sync and wait
s_barrier

/******************************************/
/* Global Write Batch #2 (d1,d0,vc1,vc0) = */
/*    (1,1,0,0:vw1); (1,2,0,0:vw1)        */
/******************************************/

/* calc coords, apply mask, and issue loads (if necessary) */
/* (d1,vc1,d0,vc0)=(1,0,1,0) */
/* (d1,vc1,d0,vc0)=(1,0,2,0) */
v_accvgpr_read_b32 v[vgprValuC+8], acc10 // copy acc to vreg[16]
v_accvgpr_read_b32 v[vgprValuC+9], acc11 // copy acc to vreg[17]
v_accvgpr_read_b32 v[vgprValuC+10], acc106 // copy acc to vreg[18]
v_accvgpr_read_b32 v[vgprValuC+11], acc107 // copy acc to vreg[19]
v_accvgpr_read_b32 v[vgprValuC+12], acc18 // copy acc to vreg[20]
v_accvgpr_read_b32 v[vgprValuC+13], acc19 // copy acc to vreg[21]
v_accvgpr_read_b32 v[vgprValuC+14], acc114 // copy acc to vreg[22]
v_accvgpr_read_b32 v[vgprValuC+15], acc115 // copy acc to vreg[23]
s_nop 1                                            // 2 wait states required before reading vgpr

/* apply mask, calc new C and issue writes */
_buffer_store_b128 v[8:11], v6, s[sgprSrdD:sgprSrdD+3], 0, offen, offset:512,  nt // store D
_buffer_store_b128 v[12:15], v6, s[sgprSrdD:sgprSrdD+3], 0, offen, offset:1024,  nt // store D
s_nop 0                                            // 1 wait state required when next inst writes vgprs held by previous dwordx4 store inst
/* optSingleColVgpr=1 optSharedColVgpr=0 optSGPRUsage=BufferLoad_Mask optSrdIncForRow=1 */
s_sleep 3 // optimization: sync and wait
s_barrier

/******************************************/
/* Global Write Batch #3 (d1,d0,vc1,vc0) = */
/*    (2,0,0,0:vw1); (2,1,0,0:vw1)        */
/******************************************/

/* calc coords, apply mask, and issue loads (if necessary) */
/* (d1,vc1,d0,vc0)=(2,0,0,0) */
/* (d1,vc1,d0,vc0)=(2,0,1,0) */
v_accvgpr_read_b32 v[vgprValuC+8], acc4 // copy acc to vreg[24]
v_accvgpr_read_b32 v[vgprValuC+9], acc5 // copy acc to vreg[25]
v_accvgpr_read_b32 v[vgprValuC+10], acc100 // copy acc to vreg[26]
v_accvgpr_read_b32 v[vgprValuC+11], acc101 // copy acc to vreg[27]
v_accvgpr_read_b32 v[vgprValuC+12], acc12 // copy acc to vreg[28]
v_accvgpr_read_b32 v[vgprValuC+13], acc13 // copy acc to vreg[29]
v_accvgpr_read_b32 v[vgprValuC+14], acc108 // copy acc to vreg[30]
v_accvgpr_read_b32 v[vgprValuC+15], acc109 // copy acc to vreg[31]
s_nop 1                                            // 2 wait states required before reading vgpr

/* apply mask, calc new C and issue writes */
s_mul_i32 s60, s[sgprStrideD1J], 64                // scale StrideD *= numRows(4) * bpe
s_add_u32  s[sgprSrdD+0], s[sgprSrdD+0], s60       // incToNextRow: gra SRD += inc(lower)
s_addc_u32  s[sgprSrdD+1], s[sgprSrdD+1], 0        // incToNextRow: gra SRD += inc(upper)
_buffer_store_b128 v[8:11], v6, s[sgprSrdD:sgprSrdD+3], 0, offen, offset:0,  nt // store D
_buffer_store_b128 v[12:15], v6, s[sgprSrdD:sgprSrdD+3], 0, offen, offset:512,  nt // store D
s_nop 0                                            // 1 wait state required when next inst writes vgprs held by previous dwordx4 store inst
/* optSingleColVgpr=1 optSharedColVgpr=0 optSGPRUsage=BufferLoad_Mask optSrdIncForRow=1 */
s_sleep 3 // optimization: sync and wait
s_barrier

/******************************************/
/* Global Write Batch #4 (d1,d0,vc1,vc0) = */
/*    (2,2,0,0:vw1); (3,0,0,0:vw1)        */
/******************************************/

/* calc coords, apply mask, and issue loads (if necessary) */
/* (d1,vc1,d0,vc0)=(2,0,2,0) */
/* (d1,vc1,d0,vc0)=(3,0,0,0) */
v_accvgpr_read_b32 v[vgprValuC+8], acc20 // copy acc to vreg[32]
v_accvgpr_read_b32 v[vgprValuC+9], acc21 // copy acc to vreg[33]
v_accvgpr_read_b32 v[vgprValuC+10], acc116 // copy acc to vreg[34]
v_accvgpr_read_b32 v[vgprValuC+11], acc117 // copy acc to vreg[35]
v_accvgpr_read_b32 v[vgprValuC+12], acc6 // copy acc to vreg[36]
v_accvgpr_read_b32 v[vgprValuC+13], acc7 // copy acc to vreg[37]
v_accvgpr_read_b32 v[vgprValuC+14], acc102 // copy acc to vreg[38]
v_accvgpr_read_b32 v[vgprValuC+15], acc103 // copy acc to vreg[39]
s_nop 1                                            // 2 wait states required before reading vgpr

/* apply mask, calc new C and issue writes */
_buffer_store_b128 v[8:11], v6, s[sgprSrdD:sgprSrdD+3], 0, offen, offset:1024,  nt // store D
s_mul_i32 s60, s[sgprStrideD1J], 64                // scale StrideD *= numRows(4) * bpe
s_add_u32  s[sgprSrdD+0], s[sgprSrdD+0], s60       // incToNextRow: gra SRD += inc(lower)
s_addc_u32  s[sgprSrdD+1], s[sgprSrdD+1], 0        // incToNextRow: gra SRD += inc(upper)
_buffer_store_b128 v[12:15], v6, s[sgprSrdD:sgprSrdD+3], 0, offen, offset:0,  nt // store D
s_nop 0                                            // 1 wait state required when next inst writes vgprs held by previous dwordx4 store inst
/* optSingleColVgpr=1 optSharedColVgpr=0 optSGPRUsage=BufferLoad_Mask optSrdIncForRow=1 */
s_sleep 3 // optimization: sync and wait
s_barrier

/******************************************/
/* Global Write Batch #5 (d1,d0,vc1,vc0) = */
/*    (3,1,0,0:vw1); (3,2,0,0:vw1)        */
/******************************************/

/* calc coords, apply mask, and issue loads (if necessary) */
/* (d1,vc1,d0,vc0)=(3,0,1,0) */
/* (d1,vc1,d0,vc0)=(3,0,2,0) */
v_accvgpr_read_b32 v[vgprValuC+8], acc14 // copy acc to vreg[40]
v_accvgpr_read_b32 v[vgprValuC+9], acc15 // copy acc to vreg[41]
v_accvgpr_read_b32 v[vgprValuC+10], acc110 // copy acc to vreg[42]
v_accvgpr_read_b32 v[vgprValuC+11], acc111 // copy acc to vreg[43]
v_accvgpr_read_b32 v[vgprValuC+12], acc22 // copy acc to vreg[44]
v_accvgpr_read_b32 v[vgprValuC+13], acc23 // copy acc to vreg[45]
v_accvgpr_read_b32 v[vgprValuC+14], acc118 // copy acc to vreg[46]
v_accvgpr_read_b32 v[vgprValuC+15], acc119 // copy acc to vreg[47]
s_nop 1                                            // 2 wait states required before reading vgpr

/* apply mask, calc new C and issue writes */
_buffer_store_b128 v[8:11], v6, s[sgprSrdD:sgprSrdD+3], 0, offen, offset:512,  nt // store D
_buffer_store_b128 v[12:15], v6, s[sgprSrdD:sgprSrdD+3], 0, offen, offset:1024,  nt // store D
s_nop 0                                            // 1 wait state required when next inst writes vgprs held by previous dwordx4 store inst
/* optSingleColVgpr=1 optSharedColVgpr=0 optSGPRUsage=BufferLoad_Mask optSrdIncForRow=1 */
s_sleep 3 // optimization: sync and wait
s_barrier

/******************************************/
/* Global Write Batch #6 (d1,d0,vc1,vc0) = */
/*    (4,0,0,0:vw1); (4,1,0,0:vw1)        */
/******************************************/

/* calc coords, apply mask, and issue loads (if necessary) */
/* (d1,vc1,d0,vc0)=(4,0,0,0) */
/* (d1,vc1,d0,vc0)=(4,0,1,0) */
v_accvgpr_read_b32 v[vgprValuC+8], acc24 // copy acc to vreg[48]
v_accvgpr_read_b32 v[vgprValuC+9], acc25 // copy acc to vreg[49]
v_accvgpr_read_b32 v[vgprValuC+10], acc120 // copy acc to vreg[50]
v_accvgpr_read_b32 v[vgprValuC+11], acc121 // copy acc to vreg[51]
v_accvgpr_read_b32 v[vgprValuC+12], acc32 // copy acc to vreg[52]
v_accvgpr_read_b32 v[vgprValuC+13], acc33 // copy acc to vreg[53]
v_accvgpr_read_b32 v[vgprValuC+14], acc128 // copy acc to vreg[54]
v_accvgpr_read_b32 v[vgprValuC+15], acc129 // copy acc to vreg[55]
s_nop 1                                            // 2 wait states required before reading vgpr

/* apply mask, calc new C and issue writes */
s_mul_i32 s60, s[sgprStrideD1J], 320               // scale StrideD *= numRows(20) * bpe
s_add_u32  s[sgprSrdD+0], s[sgprSrdD+0], s60       // incToNextRow: gra SRD += inc(lower)
s_addc_u32  s[sgprSrdD+1], s[sgprSrdD+1], 0        // incToNextRow: gra SRD += inc(upper)
_buffer_store_b128 v[8:11], v6, s[sgprSrdD:sgprSrdD+3], 0, offen, offset:0,  nt // store D
_buffer_store_b128 v[12:15], v6, s[sgprSrdD:sgprSrdD+3], 0, offen, offset:512,  nt // store D
s_nop 0                                            // 1 wait state required when next inst writes vgprs held by previous dwordx4 store inst
/* optSingleColVgpr=1 optSharedColVgpr=0 optSGPRUsage=BufferLoad_Mask optSrdIncForRow=1 */
s_sleep 3 // optimization: sync and wait
s_barrier

/******************************************/
/* Global Write Batch #7 (d1,d0,vc1,vc0) = */
/*    (4,2,0,0:vw1); (5,0,0,0:vw1)        */
/******************************************/

/* calc coords, apply mask, and issue loads (if necessary) */
/* (d1,vc1,d0,vc0)=(4,0,2,0) */
/* (d1,vc1,d0,vc0)=(5,0,0,0) */
v_accvgpr_read_b32 v[vgprValuC+8], acc40 // copy acc to vreg[56]
v_accvgpr_read_b32 v[vgprValuC+9], acc41 // copy acc to vreg[57]
v_accvgpr_read_b32 v[vgprValuC+10], acc136 // copy acc to vreg[58]
v_accvgpr_read_b32 v[vgprValuC+11], acc137 // copy acc to vreg[59]
v_accvgpr_read_b32 v[vgprValuC+12], acc26 // copy acc to vreg[60]
v_accvgpr_read_b32 v[vgprValuC+13], acc27 // copy acc to vreg[61]
v_accvgpr_read_b32 v[vgprValuC+14], acc122 // copy acc to vreg[62]
v_accvgpr_read_b32 v[vgprValuC+15], acc123 // copy acc to vreg[63]
s_nop 1                                            // 2 wait states required before reading vgpr

/* apply mask, calc new C and issue writes */
_buffer_store_b128 v[8:11], v6, s[sgprSrdD:sgprSrdD+3], 0, offen, offset:1024,  nt // store D
s_mul_i32 s60, s[sgprStrideD1J], 64                // scale StrideD *= numRows(4) * bpe
s_add_u32  s[sgprSrdD+0], s[sgprSrdD+0], s60       // incToNextRow: gra SRD += inc(lower)
s_addc_u32  s[sgprSrdD+1], s[sgprSrdD+1], 0        // incToNextRow: gra SRD += inc(upper)
_buffer_store_b128 v[12:15], v6, s[sgprSrdD:sgprSrdD+3], 0, offen, offset:0,  nt // store D
s_nop 0                                            // 1 wait state required when next inst writes vgprs held by previous dwordx4 store inst
/* optSingleColVgpr=1 optSharedColVgpr=0 optSGPRUsage=BufferLoad_Mask optSrdIncForRow=1 */
s_sleep 3 // optimization: sync and wait
s_barrier

/******************************************/
/* Global Write Batch #8 (d1,d0,vc1,vc0) = */
/*    (5,1,0,0:vw1); (5,2,0,0:vw1)        */
/******************************************/

/* calc coords, apply mask, and issue loads (if necessary) */
/* (d1,vc1,d0,vc0)=(5,0,1,0) */
/* (d1,vc1,d0,vc0)=(5,0,2,0) */
v_accvgpr_read_b32 v[vgprValuC+8], acc34 // copy acc to vreg[64]
v_accvgpr_read_b32 v[vgprValuC+9], acc35 // copy acc to vreg[65]
v_accvgpr_read_b32 v[vgprValuC+10], acc130 // copy acc to vreg[66]
v_accvgpr_read_b32 v[vgprValuC+11], acc131 // copy acc to vreg[67]
v_accvgpr_read_b32 v[vgprValuC+12], acc42 // copy acc to vreg[68]
v_accvgpr_read_b32 v[vgprValuC+13], acc43 // copy acc to vreg[69]
v_accvgpr_read_b32 v[vgprValuC+14], acc138 // copy acc to vreg[70]
v_accvgpr_read_b32 v[vgprValuC+15], acc139 // copy acc to vreg[71]
s_nop 1                                            // 2 wait states required before reading vgpr

/* apply mask, calc new C and issue writes */
_buffer_store_b128 v[8:11], v6, s[sgprSrdD:sgprSrdD+3], 0, offen, offset:512,  nt // store D
_buffer_store_b128 v[12:15], v6, s[sgprSrdD:sgprSrdD+3], 0, offen, offset:1024,  nt // store D
s_nop 0                                            // 1 wait state required when next inst writes vgprs held by previous dwordx4 store inst
/* optSingleColVgpr=1 optSharedColVgpr=0 optSGPRUsage=BufferLoad_Mask optSrdIncForRow=1 */
s_sleep 3 // optimization: sync and wait
s_barrier

/******************************************/
/* Global Write Batch #9 (d1,d0,vc1,vc0) = */
/*    (6,0,0,0:vw1); (6,1,0,0:vw1)        */
/******************************************/

/* calc coords, apply mask, and issue loads (if necessary) */
/* (d1,vc1,d0,vc0)=(6,0,0,0) */
/* (d1,vc1,d0,vc0)=(6,0,1,0) */
v_accvgpr_read_b32 v[vgprValuC+8], acc28 // copy acc to vreg[72]
v_accvgpr_read_b32 v[vgprValuC+9], acc29 // copy acc to vreg[73]
v_accvgpr_read_b32 v[vgprValuC+10], acc124 // copy acc to vreg[74]
v_accvgpr_read_b32 v[vgprValuC+11], acc125 // copy acc to vreg[75]
v_accvgpr_read_b32 v[vgprValuC+12], acc36 // copy acc to vreg[76]
v_accvgpr_read_b32 v[vgprValuC+13], acc37 // copy acc to vreg[77]
v_accvgpr_read_b32 v[vgprValuC+14], acc132 // copy acc to vreg[78]
v_accvgpr_read_b32 v[vgprValuC+15], acc133 // copy acc to vreg[79]
s_nop 1                                            // 2 wait states required before reading vgpr

/* apply mask, calc new C and issue writes */
s_mul_i32 s60, s[sgprStrideD1J], 64                // scale StrideD *= numRows(4) * bpe
s_add_u32  s[sgprSrdD+0], s[sgprSrdD+0], s60       // incToNextRow: gra SRD += inc(lower)
s_addc_u32  s[sgprSrdD+1], s[sgprSrdD+1], 0        // incToNextRow: gra SRD += inc(upper)
_buffer_store_b128 v[8:11], v6, s[sgprSrdD:sgprSrdD+3], 0, offen, offset:0,  nt // store D
_buffer_store_b128 v[12:15], v6, s[sgprSrdD:sgprSrdD+3], 0, offen, offset:512,  nt // store D
s_nop 0                                            // 1 wait state required when next inst writes vgprs held by previous dwordx4 store inst
/* optSingleColVgpr=1 optSharedColVgpr=0 optSGPRUsage=BufferLoad_Mask optSrdIncForRow=1 */
s_sleep 3 // optimization: sync and wait
s_barrier

/******************************************/
/* Global Write Batch #10 (d1,d0,vc1,vc0) = */
/*    (6,2,0,0:vw1); (7,0,0,0:vw1)        */
/******************************************/

/* calc coords, apply mask, and issue loads (if necessary) */
/* (d1,vc1,d0,vc0)=(6,0,2,0) */
/* (d1,vc1,d0,vc0)=(7,0,0,0) */
v_accvgpr_read_b32 v[vgprValuC+8], acc44 // copy acc to vreg[80]
v_accvgpr_read_b32 v[vgprValuC+9], acc45 // copy acc to vreg[81]
v_accvgpr_read_b32 v[vgprValuC+10], acc140 // copy acc to vreg[82]
v_accvgpr_read_b32 v[vgprValuC+11], acc141 // copy acc to vreg[83]
v_accvgpr_read_b32 v[vgprValuC+12], acc30 // copy acc to vreg[84]
v_accvgpr_read_b32 v[vgprValuC+13], acc31 // copy acc to vreg[85]
v_accvgpr_read_b32 v[vgprValuC+14], acc126 // copy acc to vreg[86]
v_accvgpr_read_b32 v[vgprValuC+15], acc127 // copy acc to vreg[87]
s_nop 1                                            // 2 wait states required before reading vgpr

/* apply mask, calc new C and issue writes */
_buffer_store_b128 v[8:11], v6, s[sgprSrdD:sgprSrdD+3], 0, offen, offset:1024,  nt // store D
s_mul_i32 s60, s[sgprStrideD1J], 64                // scale StrideD *= numRows(4) * bpe
s_add_u32  s[sgprSrdD+0], s[sgprSrdD+0], s60       // incToNextRow: gra SRD += inc(lower)
s_addc_u32  s[sgprSrdD+1], s[sgprSrdD+1], 0        // incToNextRow: gra SRD += inc(upper)
_buffer_store_b128 v[12:15], v6, s[sgprSrdD:sgprSrdD+3], 0, offen, offset:0,  nt // store D
s_nop 0                                            // 1 wait state required when next inst writes vgprs held by previous dwordx4 store inst
/* optSingleColVgpr=1 optSharedColVgpr=0 optSGPRUsage=BufferLoad_Mask optSrdIncForRow=1 */
s_sleep 3 // optimization: sync and wait
s_barrier

/******************************************/
/* Global Write Batch #11 (d1,d0,vc1,vc0) = */
/*    (7,1,0,0:vw1); (7,2,0,0:vw1)        */
/******************************************/

/* calc coords, apply mask, and issue loads (if necessary) */
/* (d1,vc1,d0,vc0)=(7,0,1,0) */
/* (d1,vc1,d0,vc0)=(7,0,2,0) */
v_accvgpr_read_b32 v[vgprValuC+8], acc38 // copy acc to vreg[88]
v_accvgpr_read_b32 v[vgprValuC+9], acc39 // copy acc to vreg[89]
v_accvgpr_read_b32 v[vgprValuC+10], acc134 // copy acc to vreg[90]
v_accvgpr_read_b32 v[vgprValuC+11], acc135 // copy acc to vreg[91]
v_accvgpr_read_b32 v[vgprValuC+12], acc46 // copy acc to vreg[92]
v_accvgpr_read_b32 v[vgprValuC+13], acc47 // copy acc to vreg[93]
v_accvgpr_read_b32 v[vgprValuC+14], acc142 // copy acc to vreg[94]
v_accvgpr_read_b32 v[vgprValuC+15], acc143 // copy acc to vreg[95]
s_nop 1                                            // 2 wait states required before reading vgpr

/* apply mask, calc new C and issue writes */
_buffer_store_b128 v[8:11], v6, s[sgprSrdD:sgprSrdD+3], 0, offen, offset:512,  nt // store D
_buffer_store_b128 v[12:15], v6, s[sgprSrdD:sgprSrdD+3], 0, offen, offset:1024,  nt // store D
s_nop 0                                            // 1 wait state required when next inst writes vgprs held by previous dwordx4 store inst
/* optSingleColVgpr=1 optSharedColVgpr=0 optSGPRUsage=BufferLoad_Mask optSrdIncForRow=1 */
s_sleep 3 // optimization: sync and wait
s_barrier

/******************************************/
/* Global Write Batch #12 (d1,d0,vc1,vc0) = */
/*    (8,0,0,0:vw1); (8,1,0,0:vw1)        */
/******************************************/

/* calc coords, apply mask, and issue loads (if necessary) */
/* (d1,vc1,d0,vc0)=(8,0,0,0) */
/* (d1,vc1,d0,vc0)=(8,0,1,0) */
v_accvgpr_read_b32 v[vgprValuC+8], acc48 // copy acc to vreg[96]
v_accvgpr_read_b32 v[vgprValuC+9], acc49 // copy acc to vreg[97]
v_accvgpr_read_b32 v[vgprValuC+10], acc144 // copy acc to vreg[98]
v_accvgpr_read_b32 v[vgprValuC+11], acc145 // copy acc to vreg[99]
v_accvgpr_read_b32 v[vgprValuC+12], acc56 // copy acc to vreg[100]
v_accvgpr_read_b32 v[vgprValuC+13], acc57 // copy acc to vreg[101]
v_accvgpr_read_b32 v[vgprValuC+14], acc152 // copy acc to vreg[102]
v_accvgpr_read_b32 v[vgprValuC+15], acc153 // copy acc to vreg[103]
s_nop 1                                            // 2 wait states required before reading vgpr

/* apply mask, calc new C and issue writes */
s_mul_i32 s60, s[sgprStrideD1J], 320               // scale StrideD *= numRows(20) * bpe
s_add_u32  s[sgprSrdD+0], s[sgprSrdD+0], s60       // incToNextRow: gra SRD += inc(lower)
s_addc_u32  s[sgprSrdD+1], s[sgprSrdD+1], 0        // incToNextRow: gra SRD += inc(upper)
_buffer_store_b128 v[8:11], v6, s[sgprSrdD:sgprSrdD+3], 0, offen, offset:0,  nt // store D
_buffer_store_b128 v[12:15], v6, s[sgprSrdD:sgprSrdD+3], 0, offen, offset:512,  nt // store D
s_nop 0                                            // 1 wait state required when next inst writes vgprs held by previous dwordx4 store inst
/* optSingleColVgpr=1 optSharedColVgpr=0 optSGPRUsage=BufferLoad_Mask optSrdIncForRow=1 */
s_sleep 3 // optimization: sync and wait
s_barrier

/******************************************/
/* Global Write Batch #13 (d1,d0,vc1,vc0) = */
/*    (8,2,0,0:vw1); (9,0,0,0:vw1)        */
/******************************************/

/* calc coords, apply mask, and issue loads (if necessary) */
/* (d1,vc1,d0,vc0)=(8,0,2,0) */
/* (d1,vc1,d0,vc0)=(9,0,0,0) */
v_accvgpr_read_b32 v[vgprValuC+8], acc64 // copy acc to vreg[104]
v_accvgpr_read_b32 v[vgprValuC+9], acc65 // copy acc to vreg[105]
v_accvgpr_read_b32 v[vgprValuC+10], acc160 // copy acc to vreg[106]
v_accvgpr_read_b32 v[vgprValuC+11], acc161 // copy acc to vreg[107]
v_accvgpr_read_b32 v[vgprValuC+12], acc50 // copy acc to vreg[108]
v_accvgpr_read_b32 v[vgprValuC+13], acc51 // copy acc to vreg[109]
v_accvgpr_read_b32 v[vgprValuC+14], acc146 // copy acc to vreg[110]
v_accvgpr_read_b32 v[vgprValuC+15], acc147 // copy acc to vreg[111]
s_nop 1                                            // 2 wait states required before reading vgpr

/* apply mask, calc new C and issue writes */
_buffer_store_b128 v[8:11], v6, s[sgprSrdD:sgprSrdD+3], 0, offen, offset:1024,  nt // store D
s_mul_i32 s60, s[sgprStrideD1J], 64                // scale StrideD *= numRows(4) * bpe
s_add_u32  s[sgprSrdD+0], s[sgprSrdD+0], s60       // incToNextRow: gra SRD += inc(lower)
s_addc_u32  s[sgprSrdD+1], s[sgprSrdD+1], 0        // incToNextRow: gra SRD += inc(upper)
_buffer_store_b128 v[12:15], v6, s[sgprSrdD:sgprSrdD+3], 0, offen, offset:0,  nt // store D
s_nop 0                                            // 1 wait state required when next inst writes vgprs held by previous dwordx4 store inst
/* optSingleColVgpr=1 optSharedColVgpr=0 optSGPRUsage=BufferLoad_Mask optSrdIncForRow=1 */
s_sleep 3 // optimization: sync and wait
s_barrier

/******************************************/
/* Global Write Batch #14 (d1,d0,vc1,vc0) = */
/*    (9,1,0,0:vw1); (9,2,0,0:vw1)        */
/******************************************/

/* calc coords, apply mask, and issue loads (if necessary) */
/* (d1,vc1,d0,vc0)=(9,0,1,0) */
/* (d1,vc1,d0,vc0)=(9,0,2,0) */
v_accvgpr_read_b32 v[vgprValuC+8], acc58 // copy acc to vreg[112]
v_accvgpr_read_b32 v[vgprValuC+9], acc59 // copy acc to vreg[113]
v_accvgpr_read_b32 v[vgprValuC+10], acc154 // copy acc to vreg[114]
v_accvgpr_read_b32 v[vgprValuC+11], acc155 // copy acc to vreg[115]
v_accvgpr_read_b32 v[vgprValuC+12], acc66 // copy acc to vreg[116]
v_accvgpr_read_b32 v[vgprValuC+13], acc67 // copy acc to vreg[117]
v_accvgpr_read_b32 v[vgprValuC+14], acc162 // copy acc to vreg[118]
v_accvgpr_read_b32 v[vgprValuC+15], acc163 // copy acc to vreg[119]
s_nop 1                                            // 2 wait states required before reading vgpr

/* apply mask, calc new C and issue writes */
_buffer_store_b128 v[8:11], v6, s[sgprSrdD:sgprSrdD+3], 0, offen, offset:512,  nt // store D
_buffer_store_b128 v[12:15], v6, s[sgprSrdD:sgprSrdD+3], 0, offen, offset:1024,  nt // store D
s_nop 0                                            // 1 wait state required when next inst writes vgprs held by previous dwordx4 store inst
/* optSingleColVgpr=1 optSharedColVgpr=0 optSGPRUsage=BufferLoad_Mask optSrdIncForRow=1 */
s_sleep 3 // optimization: sync and wait
s_barrier

/******************************************/
/* Global Write Batch #15 (d1,d0,vc1,vc0) = */
/*    (10,0,0,0:vw1); (10,1,0,0:vw1)      */
/******************************************/

/* calc coords, apply mask, and issue loads (if necessary) */
/* (d1,vc1,d0,vc0)=(10,0,0,0) */
/* (d1,vc1,d0,vc0)=(10,0,1,0) */
v_accvgpr_read_b32 v[vgprValuC+8], acc52 // copy acc to vreg[120]
v_accvgpr_read_b32 v[vgprValuC+9], acc53 // copy acc to vreg[121]
v_accvgpr_read_b32 v[vgprValuC+10], acc148 // copy acc to vreg[122]
v_accvgpr_read_b32 v[vgprValuC+11], acc149 // copy acc to vreg[123]
v_accvgpr_read_b32 v[vgprValuC+12], acc60 // copy acc to vreg[124]
v_accvgpr_read_b32 v[vgprValuC+13], acc61 // copy acc to vreg[125]
v_accvgpr_read_b32 v[vgprValuC+14], acc156 // copy acc to vreg[126]
v_accvgpr_read_b32 v[vgprValuC+15], acc157 // copy acc to vreg[127]
s_nop 1                                            // 2 wait states required before reading vgpr

/* apply mask, calc new C and issue writes */
s_mul_i32 s60, s[sgprStrideD1J], 64                // scale StrideD *= numRows(4) * bpe
s_add_u32  s[sgprSrdD+0], s[sgprSrdD+0], s60       // incToNextRow: gra SRD += inc(lower)
s_addc_u32  s[sgprSrdD+1], s[sgprSrdD+1], 0        // incToNextRow: gra SRD += inc(upper)
_buffer_store_b128 v[8:11], v6, s[sgprSrdD:sgprSrdD+3], 0, offen, offset:0,  nt // store D
_buffer_store_b128 v[12:15], v6, s[sgprSrdD:sgprSrdD+3], 0, offen, offset:512,  nt // store D
s_nop 0                                            // 1 wait state required when next inst writes vgprs held by previous dwordx4 store inst
/* optSingleColVgpr=1 optSharedColVgpr=0 optSGPRUsage=BufferLoad_Mask optSrdIncForRow=1 */
s_sleep 3 // optimization: sync and wait
s_barrier

/******************************************/
/* Global Write Batch #16 (d1,d0,vc1,vc0) = */
/*    (10,2,0,0:vw1); (11,0,0,0:vw1)      */
/******************************************/

/* calc coords, apply mask, and issue loads (if necessary) */
/* (d1,vc1,d0,vc0)=(10,0,2,0) */
/* (d1,vc1,d0,vc0)=(11,0,0,0) */
v_accvgpr_read_b32 v[vgprValuC+8], acc68 // copy acc to vreg[128]
v_accvgpr_read_b32 v[vgprValuC+9], acc69 // copy acc to vreg[129]
v_accvgpr_read_b32 v[vgprValuC+10], acc164 // copy acc to vreg[130]
v_accvgpr_read_b32 v[vgprValuC+11], acc165 // copy acc to vreg[131]
v_accvgpr_read_b32 v[vgprValuC+12], acc54 // copy acc to vreg[132]
v_accvgpr_read_b32 v[vgprValuC+13], acc55 // copy acc to vreg[133]
v_accvgpr_read_b32 v[vgprValuC+14], acc150 // copy acc to vreg[134]
v_accvgpr_read_b32 v[vgprValuC+15], acc151 // copy acc to vreg[135]
s_nop 1                                            // 2 wait states required before reading vgpr

/* apply mask, calc new C and issue writes */
_buffer_store_b128 v[8:11], v6, s[sgprSrdD:sgprSrdD+3], 0, offen, offset:1024,  nt // store D
s_mul_i32 s60, s[sgprStrideD1J], 64                // scale StrideD *= numRows(4) * bpe
s_add_u32  s[sgprSrdD+0], s[sgprSrdD+0], s60       // incToNextRow: gra SRD += inc(lower)
s_addc_u32  s[sgprSrdD+1], s[sgprSrdD+1], 0        // incToNextRow: gra SRD += inc(upper)
_buffer_store_b128 v[12:15], v6, s[sgprSrdD:sgprSrdD+3], 0, offen, offset:0,  nt // store D
s_nop 0                                            // 1 wait state required when next inst writes vgprs held by previous dwordx4 store inst
/* optSingleColVgpr=1 optSharedColVgpr=0 optSGPRUsage=BufferLoad_Mask optSrdIncForRow=1 */
s_sleep 3 // optimization: sync and wait
s_barrier

/******************************************/
/* Global Write Batch #17 (d1,d0,vc1,vc0) = */
/*    (11,1,0,0:vw1); (11,2,0,0:vw1)      */
/******************************************/

/* calc coords, apply mask, and issue loads (if necessary) */
/* (d1,vc1,d0,vc0)=(11,0,1,0) */
/* (d1,vc1,d0,vc0)=(11,0,2,0) */
v_accvgpr_read_b32 v[vgprValuC+8], acc62 // copy acc to vreg[136]
v_accvgpr_read_b32 v[vgprValuC+9], acc63 // copy acc to vreg[137]
v_accvgpr_read_b32 v[vgprValuC+10], acc158 // copy acc to vreg[138]
v_accvgpr_read_b32 v[vgprValuC+11], acc159 // copy acc to vreg[139]
v_accvgpr_read_b32 v[vgprValuC+12], acc70 // copy acc to vreg[140]
v_accvgpr_read_b32 v[vgprValuC+13], acc71 // copy acc to vreg[141]
v_accvgpr_read_b32 v[vgprValuC+14], acc166 // copy acc to vreg[142]
v_accvgpr_read_b32 v[vgprValuC+15], acc167 // copy acc to vreg[143]
s_nop 1                                            // 2 wait states required before reading vgpr

/* apply mask, calc new C and issue writes */
_buffer_store_b128 v[8:11], v6, s[sgprSrdD:sgprSrdD+3], 0, offen, offset:512,  nt // store D
_buffer_store_b128 v[12:15], v6, s[sgprSrdD:sgprSrdD+3], 0, offen, offset:1024,  nt // store D
s_nop 0                                            // 1 wait state required when next inst writes vgprs held by previous dwordx4 store inst
/* optSingleColVgpr=1 optSharedColVgpr=0 optSGPRUsage=BufferLoad_Mask optSrdIncForRow=1 */
s_sleep 3 // optimization: sync and wait
s_barrier

/******************************************/
/* Global Write Batch #18 (d1,d0,vc1,vc0) = */
/*    (12,0,0,0:vw1); (12,1,0,0:vw1)      */
/******************************************/

/* calc coords, apply mask, and issue loads (if necessary) */
/* (d1,vc1,d0,vc0)=(12,0,0,0) */
/* (d1,vc1,d0,vc0)=(12,0,1,0) */
v_accvgpr_read_b32 v[vgprValuC+8], acc72 // copy acc to vreg[144]
v_accvgpr_read_b32 v[vgprValuC+9], acc73 // copy acc to vreg[145]
v_accvgpr_read_b32 v[vgprValuC+10], acc168 // copy acc to vreg[146]
v_accvgpr_read_b32 v[vgprValuC+11], acc169 // copy acc to vreg[147]
v_accvgpr_read_b32 v[vgprValuC+12], acc80 // copy acc to vreg[148]
v_accvgpr_read_b32 v[vgprValuC+13], acc81 // copy acc to vreg[149]
v_accvgpr_read_b32 v[vgprValuC+14], acc176 // copy acc to vreg[150]
v_accvgpr_read_b32 v[vgprValuC+15], acc177 // copy acc to vreg[151]
s_nop 1                                            // 2 wait states required before reading vgpr

/* apply mask, calc new C and issue writes */
s_mul_i32 s60, s[sgprStrideD1J], 320               // scale StrideD *= numRows(20) * bpe
s_add_u32  s[sgprSrdD+0], s[sgprSrdD+0], s60       // incToNextRow: gra SRD += inc(lower)
s_addc_u32  s[sgprSrdD+1], s[sgprSrdD+1], 0        // incToNextRow: gra SRD += inc(upper)
_buffer_store_b128 v[8:11], v6, s[sgprSrdD:sgprSrdD+3], 0, offen, offset:0,  nt // store D
_buffer_store_b128 v[12:15], v6, s[sgprSrdD:sgprSrdD+3], 0, offen, offset:512,  nt // store D
s_nop 0                                            // 1 wait state required when next inst writes vgprs held by previous dwordx4 store inst
/* optSingleColVgpr=1 optSharedColVgpr=0 optSGPRUsage=BufferLoad_Mask optSrdIncForRow=1 */
s_sleep 3 // optimization: sync and wait
s_barrier

/******************************************/
/* Global Write Batch #19 (d1,d0,vc1,vc0) = */
/*    (12,2,0,0:vw1); (13,0,0,0:vw1)      */
/******************************************/

/* calc coords, apply mask, and issue loads (if necessary) */
/* (d1,vc1,d0,vc0)=(12,0,2,0) */
/* (d1,vc1,d0,vc0)=(13,0,0,0) */
v_accvgpr_read_b32 v[vgprValuC+8], acc88 // copy acc to vreg[152]
v_accvgpr_read_b32 v[vgprValuC+9], acc89 // copy acc to vreg[153]
v_accvgpr_read_b32 v[vgprValuC+10], acc184 // copy acc to vreg[154]
v_accvgpr_read_b32 v[vgprValuC+11], acc185 // copy acc to vreg[155]
v_accvgpr_read_b32 v[vgprValuC+12], acc74 // copy acc to vreg[156]
v_accvgpr_read_b32 v[vgprValuC+13], acc75 // copy acc to vreg[157]
v_accvgpr_read_b32 v[vgprValuC+14], acc170 // copy acc to vreg[158]
v_accvgpr_read_b32 v[vgprValuC+15], acc171 // copy acc to vreg[159]
s_nop 1                                            // 2 wait states required before reading vgpr

/* apply mask, calc new C and issue writes */
_buffer_store_b128 v[8:11], v6, s[sgprSrdD:sgprSrdD+3], 0, offen, offset:1024,  nt // store D
s_mul_i32 s60, s[sgprStrideD1J], 64                // scale StrideD *= numRows(4) * bpe
s_add_u32  s[sgprSrdD+0], s[sgprSrdD+0], s60       // incToNextRow: gra SRD += inc(lower)
s_addc_u32  s[sgprSrdD+1], s[sgprSrdD+1], 0        // incToNextRow: gra SRD += inc(upper)
_buffer_store_b128 v[12:15], v6, s[sgprSrdD:sgprSrdD+3], 0, offen, offset:0,  nt // store D
s_nop 0                                            // 1 wait state required when next inst writes vgprs held by previous dwordx4 store inst
/* optSingleColVgpr=1 optSharedColVgpr=0 optSGPRUsage=BufferLoad_Mask optSrdIncForRow=1 */
s_sleep 3 // optimization: sync and wait
s_barrier

/******************************************/
/* Global Write Batch #20 (d1,d0,vc1,vc0) = */
/*    (13,1,0,0:vw1); (13,2,0,0:vw1)      */
/******************************************/

/* calc coords, apply mask, and issue loads (if necessary) */
/* (d1,vc1,d0,vc0)=(13,0,1,0) */
/* (d1,vc1,d0,vc0)=(13,0,2,0) */
v_accvgpr_read_b32 v[vgprValuC+8], acc82 // copy acc to vreg[160]
v_accvgpr_read_b32 v[vgprValuC+9], acc83 // copy acc to vreg[161]
v_accvgpr_read_b32 v[vgprValuC+10], acc178 // copy acc to vreg[162]
v_accvgpr_read_b32 v[vgprValuC+11], acc179 // copy acc to vreg[163]
v_accvgpr_read_b32 v[vgprValuC+12], acc90 // copy acc to vreg[164]
v_accvgpr_read_b32 v[vgprValuC+13], acc91 // copy acc to vreg[165]
v_accvgpr_read_b32 v[vgprValuC+14], acc186 // copy acc to vreg[166]
v_accvgpr_read_b32 v[vgprValuC+15], acc187 // copy acc to vreg[167]
s_nop 1                                            // 2 wait states required before reading vgpr

/* apply mask, calc new C and issue writes */
_buffer_store_b128 v[8:11], v6, s[sgprSrdD:sgprSrdD+3], 0, offen, offset:512,  nt // store D
_buffer_store_b128 v[12:15], v6, s[sgprSrdD:sgprSrdD+3], 0, offen, offset:1024,  nt // store D
s_nop 0                                            // 1 wait state required when next inst writes vgprs held by previous dwordx4 store inst
/* optSingleColVgpr=1 optSharedColVgpr=0 optSGPRUsage=BufferLoad_Mask optSrdIncForRow=1 */
s_sleep 3 // optimization: sync and wait
s_barrier

/******************************************/
/* Global Write Batch #21 (d1,d0,vc1,vc0) = */
/*    (14,0,0,0:vw1); (14,1,0,0:vw1)      */
/******************************************/

/* calc coords, apply mask, and issue loads (if necessary) */
/* (d1,vc1,d0,vc0)=(14,0,0,0) */
/* (d1,vc1,d0,vc0)=(14,0,1,0) */
v_accvgpr_read_b32 v[vgprValuC+8], acc76 // copy acc to vreg[168]
v_accvgpr_read_b32 v[vgprValuC+9], acc77 // copy acc to vreg[169]
v_accvgpr_read_b32 v[vgprValuC+10], acc172 // copy acc to vreg[170]
v_accvgpr_read_b32 v[vgprValuC+11], acc173 // copy acc to vreg[171]
v_accvgpr_read_b32 v[vgprValuC+12], acc84 // copy acc to vreg[172]
v_accvgpr_read_b32 v[vgprValuC+13], acc85 // copy acc to vreg[173]
v_accvgpr_read_b32 v[vgprValuC+14], acc180 // copy acc to vreg[174]
v_accvgpr_read_b32 v[vgprValuC+15], acc181 // copy acc to vreg[175]
s_nop 1                                            // 2 wait states required before reading vgpr

/* apply mask, calc new C and issue writes */
s_mul_i32 s60, s[sgprStrideD1J], 64                // scale StrideD *= numRows(4) * bpe
s_add_u32  s[sgprSrdD+0], s[sgprSrdD+0], s60       // incToNextRow: gra SRD += inc(lower)
s_addc_u32  s[sgprSrdD+1], s[sgprSrdD+1], 0        // incToNextRow: gra SRD += inc(upper)
_buffer_store_b128 v[8:11], v6, s[sgprSrdD:sgprSrdD+3], 0, offen, offset:0,  nt // store D
_buffer_store_b128 v[12:15], v6, s[sgprSrdD:sgprSrdD+3], 0, offen, offset:512,  nt // store D
s_nop 0                                            // 1 wait state required when next inst writes vgprs held by previous dwordx4 store inst
/* optSingleColVgpr=1 optSharedColVgpr=0 optSGPRUsage=BufferLoad_Mask optSrdIncForRow=1 */
s_sleep 3 // optimization: sync and wait
s_barrier

/******************************************/
/* Global Write Batch #22 (d1,d0,vc1,vc0) = */
/*    (14,2,0,0:vw1); (15,0,0,0:vw1)      */
/******************************************/

/* calc coords, apply mask, and issue loads (if necessary) */
/* (d1,vc1,d0,vc0)=(14,0,2,0) */
/* (d1,vc1,d0,vc0)=(15,0,0,0) */
v_accvgpr_read_b32 v[vgprValuC+8], acc92 // copy acc to vreg[176]
v_accvgpr_read_b32 v[vgprValuC+9], acc93 // copy acc to vreg[177]
v_accvgpr_read_b32 v[vgprValuC+10], acc188 // copy acc to vreg[178]
v_accvgpr_read_b32 v[vgprValuC+11], acc189 // copy acc to vreg[179]
v_accvgpr_read_b32 v[vgprValuC+12], acc78 // copy acc to vreg[180]
v_accvgpr_read_b32 v[vgprValuC+13], acc79 // copy acc to vreg[181]
v_accvgpr_read_b32 v[vgprValuC+14], acc174 // copy acc to vreg[182]
v_accvgpr_read_b32 v[vgprValuC+15], acc175 // copy acc to vreg[183]
s_nop 1                                            // 2 wait states required before reading vgpr

/* apply mask, calc new C and issue writes */
_buffer_store_b128 v[8:11], v6, s[sgprSrdD:sgprSrdD+3], 0, offen, offset:1024,  nt // store D
s_mul_i32 s60, s[sgprStrideD1J], 64                // scale StrideD *= numRows(4) * bpe
s_add_u32  s[sgprSrdD+0], s[sgprSrdD+0], s60       // incToNextRow: gra SRD += inc(lower)
s_addc_u32  s[sgprSrdD+1], s[sgprSrdD+1], 0        // incToNextRow: gra SRD += inc(upper)
_buffer_store_b128 v[12:15], v6, s[sgprSrdD:sgprSrdD+3], 0, offen, offset:0,  nt // store D
s_nop 0                                            // 1 wait state required when next inst writes vgprs held by previous dwordx4 store inst
/* optSingleColVgpr=1 optSharedColVgpr=0 optSGPRUsage=BufferLoad_Mask optSrdIncForRow=1 */
s_sleep 3 // optimization: sync and wait
s_barrier

/******************************************/
/* Global Write Batch #23 (d1,d0,vc1,vc0) = */
/*    (15,1,0,0:vw1); (15,2,0,0:vw1)      */
/******************************************/

/* calc coords, apply mask, and issue loads (if necessary) */
/* (d1,vc1,d0,vc0)=(15,0,1,0) */
/* (d1,vc1,d0,vc0)=(15,0,2,0) */
v_accvgpr_read_b32 v[vgprValuC+8], acc86 // copy acc to vreg[184]
v_accvgpr_read_b32 v[vgprValuC+9], acc87 // copy acc to vreg[185]
v_accvgpr_read_b32 v[vgprValuC+10], acc182 // copy acc to vreg[186]
v_accvgpr_read_b32 v[vgprValuC+11], acc183 // copy acc to vreg[187]
v_accvgpr_read_b32 v[vgprValuC+12], acc94 // copy acc to vreg[188]
v_accvgpr_read_b32 v[vgprValuC+13], acc95 // copy acc to vreg[189]
v_accvgpr_read_b32 v[vgprValuC+14], acc190 // copy acc to vreg[190]
v_accvgpr_read_b32 v[vgprValuC+15], acc191 // copy acc to vreg[191]
s_nop 1                                            // 2 wait states required before reading vgpr

/* apply mask, calc new C and issue writes */
_buffer_store_b128 v[8:11], v6, s[sgprSrdD:sgprSrdD+3], 0, offen, offset:512,  nt // store D
_buffer_store_b128 v[12:15], v6, s[sgprSrdD:sgprSrdD+3], 0, offen, offset:1024,  nt // store D
s_nop 0                                            // 1 wait state required when next inst writes vgprs held by previous dwordx4 store inst
s_branch label_GW_End_23                           // jump to end
label_GW_End_23:

s_endpgm                                           // Kernel End
OptNLL_End_17:


/******************************************/
/* Ord. NoLoadLoop - Begin                                      */
/******************************************/


	;; [unrolled: 1-line block ×4, first 2 shown]
/* iter 0 (last unrolled loop) */

/*  grEndMfmaIndex:0, lwStartMfmaIndex:178, lwEndMfmaIndex:178  */
/*  numMfmaForLR:11, barrierMfmaIndex:180, LocalWritePerMfma:0.190 */
/*  mfmaIndex:0  */
s_waitcnt lgkmcnt(0)                               // lgkmcnt=0 vmcnt=-1wait for prior local read local write old=0, new=0 newLW=0 newLR=0
v_add_f64 v[120:121], -v[vgprValuA_X0_I0+0+0+0+2:vgprValuA_X0_I0+0+0+0+2+1], 0 // Ai=-Ai
v_mfma_f64_16x16x4_f64 a[0+0:7+0], v[vgprValuB_X0_I0+0+0+0:vgprValuB_X0_I0+0+0+0+1], v[vgprValuA_X0_I0+0+0+0:vgprValuA_X0_I0+0+0+0+1], a[0:7]
 // Cr += Ar*Br
/*  mfmaIndex:1  */
_ds_load_b128 v[vgprValuA_X1_I0+0:vgprValuA_X1_I0+0+3], v[vgprLocalReadAddrA] offset:64 // L -> Reg lro=4 swapByteOffset=0 ti=32 vIdx=0 rIdx=0 oIdx=0 buffer=1 iui=0
v_mfma_f64_16x16x4_f64 a[96+0:103+0], v[vgprValuB_X0_I0+0+0+0:vgprValuB_X0_I0+0+0+0+1], v[vgprValuA_X0_I0+0+0+0+2:vgprValuA_X0_I0+0+0+0+2+1], a[96:103]
 // Ci += Ai*Br
/*  mfmaIndex:2  */
_ds_load_b128 v[vgprValuB_X1_I0+0:vgprValuB_X1_I0+0+3], v[vgprLocalReadAddrB] offset:8192 // L -> Reg lro=512 swapByteOffset=0 ti=32 vIdx=0 rIdx=0 oIdx=0 buffer=1 iui=0
v_mfma_f64_16x16x4_f64 a[0+0:7+0], v[vgprValuB_X0_I0+0+0+0+2:vgprValuB_X0_I0+0+0+0+2+1], v[120:121], a[0:7]
 // Cr += -Ai*Bi
/*  mfmaIndex:3  */
_ds_load_b128 v[vgprValuA_X1_I0+4:vgprValuA_X1_I0+4+3], v[vgprLocalReadAddrA] offset:9280 // L -> Reg lro=4 swapByteOffset=0 ti=32 vIdx=1 rIdx=0 oIdx=0 buffer=1 iui=0
v_mfma_f64_16x16x4_f64 a[96+0:103+0], v[vgprValuB_X0_I0+0+0+0+2:vgprValuB_X0_I0+0+0+0+2+1], v[vgprValuA_X0_I0+0+0+0:vgprValuA_X0_I0+0+0+0+1], a[96:103]
 // Ci += Ar*Bi
/*  mfmaIndex:4  */
_ds_load_b128 v[vgprValuA_X1_I0+8:vgprValuA_X1_I0+8+3], v[vgprLocalReadAddrA] offset:18496 // L -> Reg lro=4 swapByteOffset=0 ti=32 vIdx=2 rIdx=0 oIdx=0 buffer=1 iui=0
v_mfma_f64_16x16x4_f64 a[24+0:31+0], v[vgprValuB_X0_I0+4+0+0:vgprValuB_X0_I0+4+0+0+1], v[vgprValuA_X0_I0+0+0+0:vgprValuA_X0_I0+0+0+0+1], a[24:31]
 // Cr += Ar*Br
/*  mfmaIndex:5  */
_ds_load_b128 v[vgprValuB_X1_I0+4:vgprValuB_X1_I0+4+3], v[vgprLocalReadAddrB] offset:8704 // L -> Reg lro=512 swapByteOffset=0 ti=32 vIdx=1 rIdx=0 oIdx=0 buffer=1 iui=0
v_mfma_f64_16x16x4_f64 a[120+0:127+0], v[vgprValuB_X0_I0+4+0+0:vgprValuB_X0_I0+4+0+0+1], v[vgprValuA_X0_I0+0+0+0+2:vgprValuA_X0_I0+0+0+0+2+1], a[120:127]
 // Ci += Ai*Br
/*  mfmaIndex:6  */
_ds_load_b128 v[vgprValuB_X1_I0+8:vgprValuB_X1_I0+8+3], v[vgprLocalReadAddrB] offset:9216 // L -> Reg lro=512 swapByteOffset=0 ti=32 vIdx=2 rIdx=0 oIdx=0 buffer=1 iui=0
v_mfma_f64_16x16x4_f64 a[24+0:31+0], v[vgprValuB_X0_I0+4+0+0+2:vgprValuB_X0_I0+4+0+0+2+1], v[120:121], a[24:31]
 // Cr += -Ai*Bi
/*  mfmaIndex:7  */
_ds_load_b128 v[vgprValuB_X1_I0+12:vgprValuB_X1_I0+12+3], v[vgprLocalReadAddrB] offset:9728 // L -> Reg lro=512 swapByteOffset=0 ti=32 vIdx=3 rIdx=0 oIdx=0 buffer=1 iui=0
/* localReadsVacancy: latencyLeft 1 */
v_mfma_f64_16x16x4_f64 a[120+0:127+0], v[vgprValuB_X0_I0+4+0+0+2:vgprValuB_X0_I0+4+0+0+2+1], v[vgprValuA_X0_I0+0+0+0:vgprValuA_X0_I0+0+0+0+1], a[120:127]
 // Ci += Ar*Bi
/*  mfmaIndex:8  */
/* localReadsVacancy: latencyLeft 5 */
v_mfma_f64_16x16x4_f64 a[48+0:55+0], v[vgprValuB_X0_I0+8+0+0:vgprValuB_X0_I0+8+0+0+1], v[vgprValuA_X0_I0+0+0+0:vgprValuA_X0_I0+0+0+0+1], a[48:55]
 // Cr += Ar*Br
/*  mfmaIndex:9  */
/* localReadsVacancy: latencyLeft 5 */
v_mfma_f64_16x16x4_f64 a[144+0:151+0], v[vgprValuB_X0_I0+8+0+0:vgprValuB_X0_I0+8+0+0+1], v[vgprValuA_X0_I0+0+0+0+2:vgprValuA_X0_I0+0+0+0+2+1], a[144:151]
 // Ci += Ai*Br
/*  mfmaIndex:10  */
/* localReadsVacancy: latencyLeft 5 */
v_mfma_f64_16x16x4_f64 a[48+0:55+0], v[vgprValuB_X0_I0+8+0+0+2:vgprValuB_X0_I0+8+0+0+2+1], v[120:121], a[48:55]
 // Cr += -Ai*Bi
/*  mfmaIndex:11  */
/* localReadsVacancy: latencyLeft 5 */
v_mfma_f64_16x16x4_f64 a[144+0:151+0], v[vgprValuB_X0_I0+8+0+0+2:vgprValuB_X0_I0+8+0+0+2+1], v[vgprValuA_X0_I0+0+0+0:vgprValuA_X0_I0+0+0+0+1], a[144:151]
 // Ci += Ar*Bi
/*  mfmaIndex:12  */
/* localReadsVacancy: latencyLeft 5 */
v_mfma_f64_16x16x4_f64 a[72+0:79+0], v[vgprValuB_X0_I0+12+0+0:vgprValuB_X0_I0+12+0+0+1], v[vgprValuA_X0_I0+0+0+0:vgprValuA_X0_I0+0+0+0+1], a[72:79]
 // Cr += Ar*Br
/*  mfmaIndex:13  */
/* localReadsVacancy: latencyLeft 5 */
v_mfma_f64_16x16x4_f64 a[168+0:175+0], v[vgprValuB_X0_I0+12+0+0:vgprValuB_X0_I0+12+0+0+1], v[vgprValuA_X0_I0+0+0+0+2:vgprValuA_X0_I0+0+0+0+2+1], a[168:175]
 // Ci += Ai*Br
/*  mfmaIndex:14  */
/* localReadsVacancy: latencyLeft 5 */
v_mfma_f64_16x16x4_f64 a[72+0:79+0], v[vgprValuB_X0_I0+12+0+0+2:vgprValuB_X0_I0+12+0+0+2+1], v[120:121], a[72:79]
 // Cr += -Ai*Bi
/*  mfmaIndex:15  */
/* localReadsVacancy: latencyLeft 5 */
v_mfma_f64_16x16x4_f64 a[168+0:175+0], v[vgprValuB_X0_I0+12+0+0+2:vgprValuB_X0_I0+12+0+0+2+1], v[vgprValuA_X0_I0+0+0+0:vgprValuA_X0_I0+0+0+0+1], a[168:175]
 // Ci += Ar*Bi
/*  mfmaIndex:16  */
/* localReadsVacancy: latencyLeft 5 */
v_add_f64 v[120:121], -v[vgprValuA_X0_I0+4+0+0+2:vgprValuA_X0_I0+4+0+0+2+1], 0 // Ai=-Ai
v_mfma_f64_16x16x4_f64 a[8+0:15+0], v[vgprValuB_X0_I0+0+0+0:vgprValuB_X0_I0+0+0+0+1], v[vgprValuA_X0_I0+4+0+0:vgprValuA_X0_I0+4+0+0+1], a[8:15]
 // Cr += Ar*Br
/*  mfmaIndex:17  */
/* localReadsVacancy: latencyLeft 5 */
v_mfma_f64_16x16x4_f64 a[104+0:111+0], v[vgprValuB_X0_I0+0+0+0:vgprValuB_X0_I0+0+0+0+1], v[vgprValuA_X0_I0+4+0+0+2:vgprValuA_X0_I0+4+0+0+2+1], a[104:111]
 // Ci += Ai*Br
/*  mfmaIndex:18  */
/* localReadsVacancy: latencyLeft 5 */
v_mfma_f64_16x16x4_f64 a[8+0:15+0], v[vgprValuB_X0_I0+0+0+0+2:vgprValuB_X0_I0+0+0+0+2+1], v[120:121], a[8:15]
 // Cr += -Ai*Bi
/*  mfmaIndex:19  */
/* localReadsVacancy: latencyLeft 5 */
v_mfma_f64_16x16x4_f64 a[104+0:111+0], v[vgprValuB_X0_I0+0+0+0+2:vgprValuB_X0_I0+0+0+0+2+1], v[vgprValuA_X0_I0+4+0+0:vgprValuA_X0_I0+4+0+0+1], a[104:111]
 // Ci += Ar*Bi
/*  mfmaIndex:20  */
/* localReadsVacancy: latencyLeft 5 */
v_mfma_f64_16x16x4_f64 a[32+0:39+0], v[vgprValuB_X0_I0+4+0+0:vgprValuB_X0_I0+4+0+0+1], v[vgprValuA_X0_I0+4+0+0:vgprValuA_X0_I0+4+0+0+1], a[32:39]
 // Cr += Ar*Br
/*  mfmaIndex:21  */
/* localReadsVacancy: latencyLeft 5 */
v_mfma_f64_16x16x4_f64 a[128+0:135+0], v[vgprValuB_X0_I0+4+0+0:vgprValuB_X0_I0+4+0+0+1], v[vgprValuA_X0_I0+4+0+0+2:vgprValuA_X0_I0+4+0+0+2+1], a[128:135]
 // Ci += Ai*Br
/*  mfmaIndex:22  */
/* localReadsVacancy: latencyLeft 5 */
v_mfma_f64_16x16x4_f64 a[32+0:39+0], v[vgprValuB_X0_I0+4+0+0+2:vgprValuB_X0_I0+4+0+0+2+1], v[120:121], a[32:39]
 // Cr += -Ai*Bi
/*  mfmaIndex:23  */
/* localReadsVacancy: latencyLeft 5 */
v_mfma_f64_16x16x4_f64 a[128+0:135+0], v[vgprValuB_X0_I0+4+0+0+2:vgprValuB_X0_I0+4+0+0+2+1], v[vgprValuA_X0_I0+4+0+0:vgprValuA_X0_I0+4+0+0+1], a[128:135]
 // Ci += Ar*Bi
/*  mfmaIndex:24  */
/* localReadsVacancy: latencyLeft 5 */
	;; [unrolled: 16-line block ×4, first 2 shown]
v_add_f64 v[120:121], -v[vgprValuA_X0_I0+8+0+0+2:vgprValuA_X0_I0+8+0+0+2+1], 0 // Ai=-Ai
v_mfma_f64_16x16x4_f64 a[16+0:23+0], v[vgprValuB_X0_I0+0+0+0:vgprValuB_X0_I0+0+0+0+1], v[vgprValuA_X0_I0+8+0+0:vgprValuA_X0_I0+8+0+0+1], a[16:23]
 // Cr += Ar*Br
/*  mfmaIndex:33  */
/* localReadsVacancy: latencyLeft 5 */
v_mfma_f64_16x16x4_f64 a[112+0:119+0], v[vgprValuB_X0_I0+0+0+0:vgprValuB_X0_I0+0+0+0+1], v[vgprValuA_X0_I0+8+0+0+2:vgprValuA_X0_I0+8+0+0+2+1], a[112:119]
 // Ci += Ai*Br
/*  mfmaIndex:34  */
/* localReadsVacancy: latencyLeft 5 */
v_mfma_f64_16x16x4_f64 a[16+0:23+0], v[vgprValuB_X0_I0+0+0+0+2:vgprValuB_X0_I0+0+0+0+2+1], v[120:121], a[16:23]
 // Cr += -Ai*Bi
/*  mfmaIndex:35  */
/* localReadsVacancy: latencyLeft 5 */
v_mfma_f64_16x16x4_f64 a[112+0:119+0], v[vgprValuB_X0_I0+0+0+0+2:vgprValuB_X0_I0+0+0+0+2+1], v[vgprValuA_X0_I0+8+0+0:vgprValuA_X0_I0+8+0+0+1], a[112:119]
 // Ci += Ar*Bi
/*  mfmaIndex:36  */
/* localReadsVacancy: latencyLeft 5 */
v_mfma_f64_16x16x4_f64 a[40+0:47+0], v[vgprValuB_X0_I0+4+0+0:vgprValuB_X0_I0+4+0+0+1], v[vgprValuA_X0_I0+8+0+0:vgprValuA_X0_I0+8+0+0+1], a[40:47]
 // Cr += Ar*Br
/*  mfmaIndex:37  */
/* localReadsVacancy: latencyLeft 5 */
v_mfma_f64_16x16x4_f64 a[136+0:143+0], v[vgprValuB_X0_I0+4+0+0:vgprValuB_X0_I0+4+0+0+1], v[vgprValuA_X0_I0+8+0+0+2:vgprValuA_X0_I0+8+0+0+2+1], a[136:143]
 // Ci += Ai*Br
/*  mfmaIndex:38  */
/* localReadsVacancy: latencyLeft 5 */
v_mfma_f64_16x16x4_f64 a[40+0:47+0], v[vgprValuB_X0_I0+4+0+0+2:vgprValuB_X0_I0+4+0+0+2+1], v[120:121], a[40:47]
 // Cr += -Ai*Bi
/*  mfmaIndex:39  */
/* localReadsVacancy: latencyLeft 5 */
v_mfma_f64_16x16x4_f64 a[136+0:143+0], v[vgprValuB_X0_I0+4+0+0+2:vgprValuB_X0_I0+4+0+0+2+1], v[vgprValuA_X0_I0+8+0+0:vgprValuA_X0_I0+8+0+0+1], a[136:143]
 // Ci += Ar*Bi
/*  mfmaIndex:40  */
/* localReadsVacancy: latencyLeft 5 */
	;; [unrolled: 16-line block ×3, first 2 shown]
v_mfma_f64_16x16x4_f64 a[88+0:95+0], v[vgprValuB_X0_I0+12+0+0:vgprValuB_X0_I0+12+0+0+1], v[vgprValuA_X0_I0+8+0+0:vgprValuA_X0_I0+8+0+0+1], a[88:95]
 // Cr += Ar*Br
/*  mfmaIndex:45  */
/* localReadsVacancy: latencyLeft 5 */
v_mfma_f64_16x16x4_f64 a[184+0:191+0], v[vgprValuB_X0_I0+12+0+0:vgprValuB_X0_I0+12+0+0+1], v[vgprValuA_X0_I0+8+0+0+2:vgprValuA_X0_I0+8+0+0+2+1], a[184:191]
 // Ci += Ai*Br
/*  mfmaIndex:46  */
/* localReadsVacancy: latencyLeft 5 */
v_mfma_f64_16x16x4_f64 a[88+0:95+0], v[vgprValuB_X0_I0+12+0+0+2:vgprValuB_X0_I0+12+0+0+2+1], v[120:121], a[88:95]
 // Cr += -Ai*Bi
/*  mfmaIndex:47  */
/* localReadsVacancy: latencyLeft 5 */
v_mfma_f64_16x16x4_f64 a[184+0:191+0], v[vgprValuB_X0_I0+12+0+0+2:vgprValuB_X0_I0+12+0+0+2+1], v[vgprValuA_X0_I0+8+0+0:vgprValuA_X0_I0+8+0+0+1], a[184:191]
 // Ci += Ar*Bi
/* numPrefetchIter=0 */
/* dataAtIterA=-1 numReadsIterA=1 skipReadsIterA=1 readsPerIterA=3 */
/* dataAtIterB=-1 numReadsIterB=1 skipReadsIterB=1 readsPerIterB=4 */


/* iter 1 (last unrolled loop) */

/*  grEndMfmaIndex:0, lwStartMfmaIndex:178, lwEndMfmaIndex:178  */
/*  numMfmaForLR:11, barrierMfmaIndex:180, LocalWritePerMfma:0.190 */
/*  mfmaIndex:48  */
_ds_load_b128 v[vgprValuA_X0_I0+0:vgprValuA_X0_I0+0+3], v[vgprLocalReadAddrA] offset:128 // L -> Reg lro=8 swapByteOffset=0 ti=32 vIdx=0 rIdx=0 oIdx=0 buffer=0 iui=0
s_waitcnt lgkmcnt(1)                               // lgkmcnt=0 vmcnt=-1wait for prior local read local write old=0, new=1 newLW=0 newLR=1
v_add_f64 v[120:121], -v[vgprValuA_X1_I0+0+0+0+2:vgprValuA_X1_I0+0+0+0+2+1], 0 // Ai=-Ai
v_mfma_f64_16x16x4_f64 a[0+0:7+0], v[vgprValuB_X1_I0+0+0+0:vgprValuB_X1_I0+0+0+0+1], v[vgprValuA_X1_I0+0+0+0:vgprValuA_X1_I0+0+0+0+1], a[0:7]
 // Cr += Ar*Br
/*  mfmaIndex:49  */
_ds_load_b128 v[vgprValuB_X0_I0+0:vgprValuB_X0_I0+0+3], v[vgprLocalReadAddrB] offset:16384 // L -> Reg lro=1024 swapByteOffset=0 ti=32 vIdx=0 rIdx=0 oIdx=0 buffer=0 iui=0
v_mfma_f64_16x16x4_f64 a[96+0:103+0], v[vgprValuB_X1_I0+0+0+0:vgprValuB_X1_I0+0+0+0+1], v[vgprValuA_X1_I0+0+0+0+2:vgprValuA_X1_I0+0+0+0+2+1], a[96:103]
 // Ci += Ai*Br
/*  mfmaIndex:50  */
_ds_load_b128 v[vgprValuA_X0_I0+4:vgprValuA_X0_I0+4+3], v[vgprLocalReadAddrA] offset:9344 // L -> Reg lro=8 swapByteOffset=0 ti=32 vIdx=1 rIdx=0 oIdx=0 buffer=0 iui=0
v_mfma_f64_16x16x4_f64 a[0+0:7+0], v[vgprValuB_X1_I0+0+0+0+2:vgprValuB_X1_I0+0+0+0+2+1], v[120:121], a[0:7]
 // Cr += -Ai*Bi
/*  mfmaIndex:51  */
_ds_load_b128 v[vgprValuA_X0_I0+8:vgprValuA_X0_I0+8+3], v[vgprLocalReadAddrA] offset:18560 // L -> Reg lro=8 swapByteOffset=0 ti=32 vIdx=2 rIdx=0 oIdx=0 buffer=0 iui=0
v_mfma_f64_16x16x4_f64 a[96+0:103+0], v[vgprValuB_X1_I0+0+0+0+2:vgprValuB_X1_I0+0+0+0+2+1], v[vgprValuA_X1_I0+0+0+0:vgprValuA_X1_I0+0+0+0+1], a[96:103]
 // Ci += Ar*Bi
/*  mfmaIndex:52  */
_ds_load_b128 v[vgprValuB_X0_I0+4:vgprValuB_X0_I0+4+3], v[vgprLocalReadAddrB] offset:16896 // L -> Reg lro=1024 swapByteOffset=0 ti=32 vIdx=1 rIdx=0 oIdx=0 buffer=0 iui=0
v_mfma_f64_16x16x4_f64 a[24+0:31+0], v[vgprValuB_X1_I0+4+0+0:vgprValuB_X1_I0+4+0+0+1], v[vgprValuA_X1_I0+0+0+0:vgprValuA_X1_I0+0+0+0+1], a[24:31]
 // Cr += Ar*Br
/*  mfmaIndex:53  */
_ds_load_b128 v[vgprValuB_X0_I0+8:vgprValuB_X0_I0+8+3], v[vgprLocalReadAddrB] offset:17408 // L -> Reg lro=1024 swapByteOffset=0 ti=32 vIdx=2 rIdx=0 oIdx=0 buffer=0 iui=0
v_mfma_f64_16x16x4_f64 a[120+0:127+0], v[vgprValuB_X1_I0+4+0+0:vgprValuB_X1_I0+4+0+0+1], v[vgprValuA_X1_I0+0+0+0+2:vgprValuA_X1_I0+0+0+0+2+1], a[120:127]
 // Ci += Ai*Br
/*  mfmaIndex:54  */
_ds_load_b128 v[vgprValuB_X0_I0+12:vgprValuB_X0_I0+12+3], v[vgprLocalReadAddrB] offset:17920 // L -> Reg lro=1024 swapByteOffset=0 ti=32 vIdx=3 rIdx=0 oIdx=0 buffer=0 iui=0
/* localReadsVacancy: latencyLeft 1 */
v_mfma_f64_16x16x4_f64 a[24+0:31+0], v[vgprValuB_X1_I0+4+0+0+2:vgprValuB_X1_I0+4+0+0+2+1], v[120:121], a[24:31]
 // Cr += -Ai*Bi
/*  mfmaIndex:55  */
/* localReadsVacancy: latencyLeft 5 */
v_mfma_f64_16x16x4_f64 a[120+0:127+0], v[vgprValuB_X1_I0+4+0+0+2:vgprValuB_X1_I0+4+0+0+2+1], v[vgprValuA_X1_I0+0+0+0:vgprValuA_X1_I0+0+0+0+1], a[120:127]
 // Ci += Ar*Bi
/*  mfmaIndex:56  */
/* localReadsVacancy: latencyLeft 5 */
v_mfma_f64_16x16x4_f64 a[48+0:55+0], v[vgprValuB_X1_I0+8+0+0:vgprValuB_X1_I0+8+0+0+1], v[vgprValuA_X1_I0+0+0+0:vgprValuA_X1_I0+0+0+0+1], a[48:55]
 // Cr += Ar*Br
/*  mfmaIndex:57  */
/* localReadsVacancy: latencyLeft 5 */
v_mfma_f64_16x16x4_f64 a[144+0:151+0], v[vgprValuB_X1_I0+8+0+0:vgprValuB_X1_I0+8+0+0+1], v[vgprValuA_X1_I0+0+0+0+2:vgprValuA_X1_I0+0+0+0+2+1], a[144:151]
 // Ci += Ai*Br
/*  mfmaIndex:58  */
/* localReadsVacancy: latencyLeft 5 */
v_mfma_f64_16x16x4_f64 a[48+0:55+0], v[vgprValuB_X1_I0+8+0+0+2:vgprValuB_X1_I0+8+0+0+2+1], v[120:121], a[48:55]
 // Cr += -Ai*Bi
/*  mfmaIndex:59  */
/* localReadsVacancy: latencyLeft 5 */
v_mfma_f64_16x16x4_f64 a[144+0:151+0], v[vgprValuB_X1_I0+8+0+0+2:vgprValuB_X1_I0+8+0+0+2+1], v[vgprValuA_X1_I0+0+0+0:vgprValuA_X1_I0+0+0+0+1], a[144:151]
 // Ci += Ar*Bi
/*  mfmaIndex:60  */
/* localReadsVacancy: latencyLeft 5 */
v_mfma_f64_16x16x4_f64 a[72+0:79+0], v[vgprValuB_X1_I0+12+0+0:vgprValuB_X1_I0+12+0+0+1], v[vgprValuA_X1_I0+0+0+0:vgprValuA_X1_I0+0+0+0+1], a[72:79]
 // Cr += Ar*Br
/*  mfmaIndex:61  */
/* localReadsVacancy: latencyLeft 5 */
v_mfma_f64_16x16x4_f64 a[168+0:175+0], v[vgprValuB_X1_I0+12+0+0:vgprValuB_X1_I0+12+0+0+1], v[vgprValuA_X1_I0+0+0+0+2:vgprValuA_X1_I0+0+0+0+2+1], a[168:175]
 // Ci += Ai*Br
/*  mfmaIndex:62  */
/* localReadsVacancy: latencyLeft 5 */
v_mfma_f64_16x16x4_f64 a[72+0:79+0], v[vgprValuB_X1_I0+12+0+0+2:vgprValuB_X1_I0+12+0+0+2+1], v[120:121], a[72:79]
 // Cr += -Ai*Bi
/*  mfmaIndex:63  */
/* localReadsVacancy: latencyLeft 5 */
v_mfma_f64_16x16x4_f64 a[168+0:175+0], v[vgprValuB_X1_I0+12+0+0+2:vgprValuB_X1_I0+12+0+0+2+1], v[vgprValuA_X1_I0+0+0+0:vgprValuA_X1_I0+0+0+0+1], a[168:175]
 // Ci += Ar*Bi
/*  mfmaIndex:64  */
/* localReadsVacancy: latencyLeft 5 */
v_add_f64 v[120:121], -v[vgprValuA_X1_I0+4+0+0+2:vgprValuA_X1_I0+4+0+0+2+1], 0 // Ai=-Ai
v_mfma_f64_16x16x4_f64 a[8+0:15+0], v[vgprValuB_X1_I0+0+0+0:vgprValuB_X1_I0+0+0+0+1], v[vgprValuA_X1_I0+4+0+0:vgprValuA_X1_I0+4+0+0+1], a[8:15]
 // Cr += Ar*Br
/*  mfmaIndex:65  */
/* localReadsVacancy: latencyLeft 5 */
v_mfma_f64_16x16x4_f64 a[104+0:111+0], v[vgprValuB_X1_I0+0+0+0:vgprValuB_X1_I0+0+0+0+1], v[vgprValuA_X1_I0+4+0+0+2:vgprValuA_X1_I0+4+0+0+2+1], a[104:111]
 // Ci += Ai*Br
/*  mfmaIndex:66  */
/* localReadsVacancy: latencyLeft 5 */
v_mfma_f64_16x16x4_f64 a[8+0:15+0], v[vgprValuB_X1_I0+0+0+0+2:vgprValuB_X1_I0+0+0+0+2+1], v[120:121], a[8:15]
 // Cr += -Ai*Bi
/*  mfmaIndex:67  */
/* localReadsVacancy: latencyLeft 5 */
v_mfma_f64_16x16x4_f64 a[104+0:111+0], v[vgprValuB_X1_I0+0+0+0+2:vgprValuB_X1_I0+0+0+0+2+1], v[vgprValuA_X1_I0+4+0+0:vgprValuA_X1_I0+4+0+0+1], a[104:111]
 // Ci += Ar*Bi
/*  mfmaIndex:68  */
/* localReadsVacancy: latencyLeft 5 */
v_mfma_f64_16x16x4_f64 a[32+0:39+0], v[vgprValuB_X1_I0+4+0+0:vgprValuB_X1_I0+4+0+0+1], v[vgprValuA_X1_I0+4+0+0:vgprValuA_X1_I0+4+0+0+1], a[32:39]
 // Cr += Ar*Br
/*  mfmaIndex:69  */
/* localReadsVacancy: latencyLeft 5 */
v_mfma_f64_16x16x4_f64 a[128+0:135+0], v[vgprValuB_X1_I0+4+0+0:vgprValuB_X1_I0+4+0+0+1], v[vgprValuA_X1_I0+4+0+0+2:vgprValuA_X1_I0+4+0+0+2+1], a[128:135]
 // Ci += Ai*Br
/*  mfmaIndex:70  */
/* localReadsVacancy: latencyLeft 5 */
v_mfma_f64_16x16x4_f64 a[32+0:39+0], v[vgprValuB_X1_I0+4+0+0+2:vgprValuB_X1_I0+4+0+0+2+1], v[120:121], a[32:39]
 // Cr += -Ai*Bi
/*  mfmaIndex:71  */
/* localReadsVacancy: latencyLeft 5 */
v_mfma_f64_16x16x4_f64 a[128+0:135+0], v[vgprValuB_X1_I0+4+0+0+2:vgprValuB_X1_I0+4+0+0+2+1], v[vgprValuA_X1_I0+4+0+0:vgprValuA_X1_I0+4+0+0+1], a[128:135]
 // Ci += Ar*Bi
/*  mfmaIndex:72  */
/* localReadsVacancy: latencyLeft 5 */
	;; [unrolled: 16-line block ×4, first 2 shown]
v_add_f64 v[120:121], -v[vgprValuA_X1_I0+8+0+0+2:vgprValuA_X1_I0+8+0+0+2+1], 0 // Ai=-Ai
v_mfma_f64_16x16x4_f64 a[16+0:23+0], v[vgprValuB_X1_I0+0+0+0:vgprValuB_X1_I0+0+0+0+1], v[vgprValuA_X1_I0+8+0+0:vgprValuA_X1_I0+8+0+0+1], a[16:23]
 // Cr += Ar*Br
/*  mfmaIndex:81  */
/* localReadsVacancy: latencyLeft 5 */
v_mfma_f64_16x16x4_f64 a[112+0:119+0], v[vgprValuB_X1_I0+0+0+0:vgprValuB_X1_I0+0+0+0+1], v[vgprValuA_X1_I0+8+0+0+2:vgprValuA_X1_I0+8+0+0+2+1], a[112:119]
 // Ci += Ai*Br
/*  mfmaIndex:82  */
/* localReadsVacancy: latencyLeft 5 */
v_mfma_f64_16x16x4_f64 a[16+0:23+0], v[vgprValuB_X1_I0+0+0+0+2:vgprValuB_X1_I0+0+0+0+2+1], v[120:121], a[16:23]
 // Cr += -Ai*Bi
/*  mfmaIndex:83  */
/* localReadsVacancy: latencyLeft 5 */
v_mfma_f64_16x16x4_f64 a[112+0:119+0], v[vgprValuB_X1_I0+0+0+0+2:vgprValuB_X1_I0+0+0+0+2+1], v[vgprValuA_X1_I0+8+0+0:vgprValuA_X1_I0+8+0+0+1], a[112:119]
 // Ci += Ar*Bi
/*  mfmaIndex:84  */
/* localReadsVacancy: latencyLeft 5 */
v_mfma_f64_16x16x4_f64 a[40+0:47+0], v[vgprValuB_X1_I0+4+0+0:vgprValuB_X1_I0+4+0+0+1], v[vgprValuA_X1_I0+8+0+0:vgprValuA_X1_I0+8+0+0+1], a[40:47]
 // Cr += Ar*Br
/*  mfmaIndex:85  */
/* localReadsVacancy: latencyLeft 5 */
v_mfma_f64_16x16x4_f64 a[136+0:143+0], v[vgprValuB_X1_I0+4+0+0:vgprValuB_X1_I0+4+0+0+1], v[vgprValuA_X1_I0+8+0+0+2:vgprValuA_X1_I0+8+0+0+2+1], a[136:143]
 // Ci += Ai*Br
/*  mfmaIndex:86  */
/* localReadsVacancy: latencyLeft 5 */
v_mfma_f64_16x16x4_f64 a[40+0:47+0], v[vgprValuB_X1_I0+4+0+0+2:vgprValuB_X1_I0+4+0+0+2+1], v[120:121], a[40:47]
 // Cr += -Ai*Bi
/*  mfmaIndex:87  */
/* localReadsVacancy: latencyLeft 5 */
v_mfma_f64_16x16x4_f64 a[136+0:143+0], v[vgprValuB_X1_I0+4+0+0+2:vgprValuB_X1_I0+4+0+0+2+1], v[vgprValuA_X1_I0+8+0+0:vgprValuA_X1_I0+8+0+0+1], a[136:143]
 // Ci += Ar*Bi
/*  mfmaIndex:88  */
/* localReadsVacancy: latencyLeft 5 */
	;; [unrolled: 16-line block ×3, first 2 shown]
v_mfma_f64_16x16x4_f64 a[88+0:95+0], v[vgprValuB_X1_I0+12+0+0:vgprValuB_X1_I0+12+0+0+1], v[vgprValuA_X1_I0+8+0+0:vgprValuA_X1_I0+8+0+0+1], a[88:95]
 // Cr += Ar*Br
/*  mfmaIndex:93  */
/* localReadsVacancy: latencyLeft 5 */
v_mfma_f64_16x16x4_f64 a[184+0:191+0], v[vgprValuB_X1_I0+12+0+0:vgprValuB_X1_I0+12+0+0+1], v[vgprValuA_X1_I0+8+0+0+2:vgprValuA_X1_I0+8+0+0+2+1], a[184:191]
 // Ci += Ai*Br
/*  mfmaIndex:94  */
/* localReadsVacancy: latencyLeft 5 */
v_mfma_f64_16x16x4_f64 a[88+0:95+0], v[vgprValuB_X1_I0+12+0+0+2:vgprValuB_X1_I0+12+0+0+2+1], v[120:121], a[88:95]
 // Cr += -Ai*Bi
/*  mfmaIndex:95  */
/* localReadsVacancy: latencyLeft 5 */
v_mfma_f64_16x16x4_f64 a[184+0:191+0], v[vgprValuB_X1_I0+12+0+0+2:vgprValuB_X1_I0+12+0+0+2+1], v[vgprValuA_X1_I0+8+0+0:vgprValuA_X1_I0+8+0+0+1], a[184:191]
 // Ci += Ar*Bi
/* numPrefetchIter=0 */
/* dataAtIterA=0 numReadsIterA=2 skipReadsIterA=1 readsPerIterA=3 */
/* dataAtIterB=0 numReadsIterB=2 skipReadsIterB=1 readsPerIterB=4 */


/* iter 2 (last unrolled loop) */

/*  grEndMfmaIndex:0, lwStartMfmaIndex:178, lwEndMfmaIndex:178  */
/*  numMfmaForLR:11, barrierMfmaIndex:180, LocalWritePerMfma:0.190 */
/*  mfmaIndex:96  */
_ds_load_b128 v[vgprValuA_X1_I0+0:vgprValuA_X1_I0+0+3], v[vgprLocalReadAddrA] offset:192 // L -> Reg lro=12 swapByteOffset=0 ti=32 vIdx=0 rIdx=0 oIdx=0 buffer=1 iui=0
s_waitcnt lgkmcnt(1)                               // lgkmcnt=0 vmcnt=-1wait for prior local read local write old=0, new=1 newLW=0 newLR=1
v_add_f64 v[120:121], -v[vgprValuA_X0_I0+0+0+0+2:vgprValuA_X0_I0+0+0+0+2+1], 0 // Ai=-Ai
v_mfma_f64_16x16x4_f64 a[0+0:7+0], v[vgprValuB_X0_I0+0+0+0:vgprValuB_X0_I0+0+0+0+1], v[vgprValuA_X0_I0+0+0+0:vgprValuA_X0_I0+0+0+0+1], a[0:7]
 // Cr += Ar*Br
/*  mfmaIndex:97  */
_ds_load_b128 v[vgprValuB_X1_I0+0:vgprValuB_X1_I0+0+3], v[vgprLocalReadAddrB] offset:24576 // L -> Reg lro=1536 swapByteOffset=0 ti=32 vIdx=0 rIdx=0 oIdx=0 buffer=1 iui=0
v_mfma_f64_16x16x4_f64 a[96+0:103+0], v[vgprValuB_X0_I0+0+0+0:vgprValuB_X0_I0+0+0+0+1], v[vgprValuA_X0_I0+0+0+0+2:vgprValuA_X0_I0+0+0+0+2+1], a[96:103]
 // Ci += Ai*Br
/*  mfmaIndex:98  */
_ds_load_b128 v[vgprValuA_X1_I0+4:vgprValuA_X1_I0+4+3], v[vgprLocalReadAddrA] offset:9408 // L -> Reg lro=12 swapByteOffset=0 ti=32 vIdx=1 rIdx=0 oIdx=0 buffer=1 iui=0
v_mfma_f64_16x16x4_f64 a[0+0:7+0], v[vgprValuB_X0_I0+0+0+0+2:vgprValuB_X0_I0+0+0+0+2+1], v[120:121], a[0:7]
 // Cr += -Ai*Bi
/*  mfmaIndex:99  */
_ds_load_b128 v[vgprValuA_X1_I0+8:vgprValuA_X1_I0+8+3], v[vgprLocalReadAddrA] offset:18624 // L -> Reg lro=12 swapByteOffset=0 ti=32 vIdx=2 rIdx=0 oIdx=0 buffer=1 iui=0
v_mfma_f64_16x16x4_f64 a[96+0:103+0], v[vgprValuB_X0_I0+0+0+0+2:vgprValuB_X0_I0+0+0+0+2+1], v[vgprValuA_X0_I0+0+0+0:vgprValuA_X0_I0+0+0+0+1], a[96:103]
 // Ci += Ar*Bi
/*  mfmaIndex:100  */
_ds_load_b128 v[vgprValuB_X1_I0+4:vgprValuB_X1_I0+4+3], v[vgprLocalReadAddrB] offset:25088 // L -> Reg lro=1536 swapByteOffset=0 ti=32 vIdx=1 rIdx=0 oIdx=0 buffer=1 iui=0
v_mfma_f64_16x16x4_f64 a[24+0:31+0], v[vgprValuB_X0_I0+4+0+0:vgprValuB_X0_I0+4+0+0+1], v[vgprValuA_X0_I0+0+0+0:vgprValuA_X0_I0+0+0+0+1], a[24:31]
 // Cr += Ar*Br
/*  mfmaIndex:101  */
_ds_load_b128 v[vgprValuB_X1_I0+8:vgprValuB_X1_I0+8+3], v[vgprLocalReadAddrB] offset:25600 // L -> Reg lro=1536 swapByteOffset=0 ti=32 vIdx=2 rIdx=0 oIdx=0 buffer=1 iui=0
v_mfma_f64_16x16x4_f64 a[120+0:127+0], v[vgprValuB_X0_I0+4+0+0:vgprValuB_X0_I0+4+0+0+1], v[vgprValuA_X0_I0+0+0+0+2:vgprValuA_X0_I0+0+0+0+2+1], a[120:127]
 // Ci += Ai*Br
/*  mfmaIndex:102  */
_ds_load_b128 v[vgprValuB_X1_I0+12:vgprValuB_X1_I0+12+3], v[vgprLocalReadAddrB] offset:26112 // L -> Reg lro=1536 swapByteOffset=0 ti=32 vIdx=3 rIdx=0 oIdx=0 buffer=1 iui=0
/* localReadsVacancy: latencyLeft 1 */
v_mfma_f64_16x16x4_f64 a[24+0:31+0], v[vgprValuB_X0_I0+4+0+0+2:vgprValuB_X0_I0+4+0+0+2+1], v[120:121], a[24:31]
 // Cr += -Ai*Bi
/*  mfmaIndex:103  */
/* localReadsVacancy: latencyLeft 5 */
v_mfma_f64_16x16x4_f64 a[120+0:127+0], v[vgprValuB_X0_I0+4+0+0+2:vgprValuB_X0_I0+4+0+0+2+1], v[vgprValuA_X0_I0+0+0+0:vgprValuA_X0_I0+0+0+0+1], a[120:127]
 // Ci += Ar*Bi
/*  mfmaIndex:104  */
/* localReadsVacancy: latencyLeft 5 */
v_mfma_f64_16x16x4_f64 a[48+0:55+0], v[vgprValuB_X0_I0+8+0+0:vgprValuB_X0_I0+8+0+0+1], v[vgprValuA_X0_I0+0+0+0:vgprValuA_X0_I0+0+0+0+1], a[48:55]
 // Cr += Ar*Br
/*  mfmaIndex:105  */
/* localReadsVacancy: latencyLeft 5 */
v_mfma_f64_16x16x4_f64 a[144+0:151+0], v[vgprValuB_X0_I0+8+0+0:vgprValuB_X0_I0+8+0+0+1], v[vgprValuA_X0_I0+0+0+0+2:vgprValuA_X0_I0+0+0+0+2+1], a[144:151]
 // Ci += Ai*Br
/*  mfmaIndex:106  */
/* localReadsVacancy: latencyLeft 5 */
v_mfma_f64_16x16x4_f64 a[48+0:55+0], v[vgprValuB_X0_I0+8+0+0+2:vgprValuB_X0_I0+8+0+0+2+1], v[120:121], a[48:55]
 // Cr += -Ai*Bi
/*  mfmaIndex:107  */
/* localReadsVacancy: latencyLeft 5 */
v_mfma_f64_16x16x4_f64 a[144+0:151+0], v[vgprValuB_X0_I0+8+0+0+2:vgprValuB_X0_I0+8+0+0+2+1], v[vgprValuA_X0_I0+0+0+0:vgprValuA_X0_I0+0+0+0+1], a[144:151]
 // Ci += Ar*Bi
/*  mfmaIndex:108  */
/* localReadsVacancy: latencyLeft 5 */
v_mfma_f64_16x16x4_f64 a[72+0:79+0], v[vgprValuB_X0_I0+12+0+0:vgprValuB_X0_I0+12+0+0+1], v[vgprValuA_X0_I0+0+0+0:vgprValuA_X0_I0+0+0+0+1], a[72:79]
 // Cr += Ar*Br
/*  mfmaIndex:109  */
/* localReadsVacancy: latencyLeft 5 */
v_mfma_f64_16x16x4_f64 a[168+0:175+0], v[vgprValuB_X0_I0+12+0+0:vgprValuB_X0_I0+12+0+0+1], v[vgprValuA_X0_I0+0+0+0+2:vgprValuA_X0_I0+0+0+0+2+1], a[168:175]
 // Ci += Ai*Br
/*  mfmaIndex:110  */
/* localReadsVacancy: latencyLeft 5 */
v_mfma_f64_16x16x4_f64 a[72+0:79+0], v[vgprValuB_X0_I0+12+0+0+2:vgprValuB_X0_I0+12+0+0+2+1], v[120:121], a[72:79]
 // Cr += -Ai*Bi
/*  mfmaIndex:111  */
/* localReadsVacancy: latencyLeft 5 */
v_mfma_f64_16x16x4_f64 a[168+0:175+0], v[vgprValuB_X0_I0+12+0+0+2:vgprValuB_X0_I0+12+0+0+2+1], v[vgprValuA_X0_I0+0+0+0:vgprValuA_X0_I0+0+0+0+1], a[168:175]
 // Ci += Ar*Bi
/*  mfmaIndex:112  */
/* localReadsVacancy: latencyLeft 5 */
v_add_f64 v[120:121], -v[vgprValuA_X0_I0+4+0+0+2:vgprValuA_X0_I0+4+0+0+2+1], 0 // Ai=-Ai
v_mfma_f64_16x16x4_f64 a[8+0:15+0], v[vgprValuB_X0_I0+0+0+0:vgprValuB_X0_I0+0+0+0+1], v[vgprValuA_X0_I0+4+0+0:vgprValuA_X0_I0+4+0+0+1], a[8:15]
 // Cr += Ar*Br
/*  mfmaIndex:113  */
/* localReadsVacancy: latencyLeft 5 */
v_mfma_f64_16x16x4_f64 a[104+0:111+0], v[vgprValuB_X0_I0+0+0+0:vgprValuB_X0_I0+0+0+0+1], v[vgprValuA_X0_I0+4+0+0+2:vgprValuA_X0_I0+4+0+0+2+1], a[104:111]
 // Ci += Ai*Br
/*  mfmaIndex:114  */
/* localReadsVacancy: latencyLeft 5 */
v_mfma_f64_16x16x4_f64 a[8+0:15+0], v[vgprValuB_X0_I0+0+0+0+2:vgprValuB_X0_I0+0+0+0+2+1], v[120:121], a[8:15]
 // Cr += -Ai*Bi
/*  mfmaIndex:115  */
/* localReadsVacancy: latencyLeft 5 */
v_mfma_f64_16x16x4_f64 a[104+0:111+0], v[vgprValuB_X0_I0+0+0+0+2:vgprValuB_X0_I0+0+0+0+2+1], v[vgprValuA_X0_I0+4+0+0:vgprValuA_X0_I0+4+0+0+1], a[104:111]
 // Ci += Ar*Bi
/*  mfmaIndex:116  */
/* localReadsVacancy: latencyLeft 5 */
v_mfma_f64_16x16x4_f64 a[32+0:39+0], v[vgprValuB_X0_I0+4+0+0:vgprValuB_X0_I0+4+0+0+1], v[vgprValuA_X0_I0+4+0+0:vgprValuA_X0_I0+4+0+0+1], a[32:39]
 // Cr += Ar*Br
/*  mfmaIndex:117  */
/* localReadsVacancy: latencyLeft 5 */
v_mfma_f64_16x16x4_f64 a[128+0:135+0], v[vgprValuB_X0_I0+4+0+0:vgprValuB_X0_I0+4+0+0+1], v[vgprValuA_X0_I0+4+0+0+2:vgprValuA_X0_I0+4+0+0+2+1], a[128:135]
 // Ci += Ai*Br
/*  mfmaIndex:118  */
/* localReadsVacancy: latencyLeft 5 */
v_mfma_f64_16x16x4_f64 a[32+0:39+0], v[vgprValuB_X0_I0+4+0+0+2:vgprValuB_X0_I0+4+0+0+2+1], v[120:121], a[32:39]
 // Cr += -Ai*Bi
/*  mfmaIndex:119  */
/* localReadsVacancy: latencyLeft 5 */
v_mfma_f64_16x16x4_f64 a[128+0:135+0], v[vgprValuB_X0_I0+4+0+0+2:vgprValuB_X0_I0+4+0+0+2+1], v[vgprValuA_X0_I0+4+0+0:vgprValuA_X0_I0+4+0+0+1], a[128:135]
 // Ci += Ar*Bi
/*  mfmaIndex:120  */
/* localReadsVacancy: latencyLeft 5 */
	;; [unrolled: 16-line block ×4, first 2 shown]
v_add_f64 v[120:121], -v[vgprValuA_X0_I0+8+0+0+2:vgprValuA_X0_I0+8+0+0+2+1], 0 // Ai=-Ai
v_mfma_f64_16x16x4_f64 a[16+0:23+0], v[vgprValuB_X0_I0+0+0+0:vgprValuB_X0_I0+0+0+0+1], v[vgprValuA_X0_I0+8+0+0:vgprValuA_X0_I0+8+0+0+1], a[16:23]
 // Cr += Ar*Br
/*  mfmaIndex:129  */
/* localReadsVacancy: latencyLeft 5 */
v_mfma_f64_16x16x4_f64 a[112+0:119+0], v[vgprValuB_X0_I0+0+0+0:vgprValuB_X0_I0+0+0+0+1], v[vgprValuA_X0_I0+8+0+0+2:vgprValuA_X0_I0+8+0+0+2+1], a[112:119]
 // Ci += Ai*Br
/*  mfmaIndex:130  */
/* localReadsVacancy: latencyLeft 5 */
v_mfma_f64_16x16x4_f64 a[16+0:23+0], v[vgprValuB_X0_I0+0+0+0+2:vgprValuB_X0_I0+0+0+0+2+1], v[120:121], a[16:23]
 // Cr += -Ai*Bi
/*  mfmaIndex:131  */
/* localReadsVacancy: latencyLeft 5 */
v_mfma_f64_16x16x4_f64 a[112+0:119+0], v[vgprValuB_X0_I0+0+0+0+2:vgprValuB_X0_I0+0+0+0+2+1], v[vgprValuA_X0_I0+8+0+0:vgprValuA_X0_I0+8+0+0+1], a[112:119]
 // Ci += Ar*Bi
/*  mfmaIndex:132  */
/* localReadsVacancy: latencyLeft 5 */
v_mfma_f64_16x16x4_f64 a[40+0:47+0], v[vgprValuB_X0_I0+4+0+0:vgprValuB_X0_I0+4+0+0+1], v[vgprValuA_X0_I0+8+0+0:vgprValuA_X0_I0+8+0+0+1], a[40:47]
 // Cr += Ar*Br
/*  mfmaIndex:133  */
/* localReadsVacancy: latencyLeft 5 */
v_mfma_f64_16x16x4_f64 a[136+0:143+0], v[vgprValuB_X0_I0+4+0+0:vgprValuB_X0_I0+4+0+0+1], v[vgprValuA_X0_I0+8+0+0+2:vgprValuA_X0_I0+8+0+0+2+1], a[136:143]
 // Ci += Ai*Br
/*  mfmaIndex:134  */
/* localReadsVacancy: latencyLeft 5 */
v_mfma_f64_16x16x4_f64 a[40+0:47+0], v[vgprValuB_X0_I0+4+0+0+2:vgprValuB_X0_I0+4+0+0+2+1], v[120:121], a[40:47]
 // Cr += -Ai*Bi
/*  mfmaIndex:135  */
/* localReadsVacancy: latencyLeft 5 */
v_mfma_f64_16x16x4_f64 a[136+0:143+0], v[vgprValuB_X0_I0+4+0+0+2:vgprValuB_X0_I0+4+0+0+2+1], v[vgprValuA_X0_I0+8+0+0:vgprValuA_X0_I0+8+0+0+1], a[136:143]
 // Ci += Ar*Bi
/*  mfmaIndex:136  */
/* localReadsVacancy: latencyLeft 5 */
v_mfma_f64_16x16x4_f64 a[64+0:71+0], v[vgprValuB_X0_I0+8+0+0:vgprValuB_X0_I0+8+0+0+1], v[vgprValuA_X0_I0+8+0+0:vgprValuA_X0_I0+8+0+0+1], a[64:71]
 // Cr += Ar*Br
/*  mfmaIndex:137  */
/* localReadsVacancy: latencyLeft 5 */
v_mfma_f64_16x16x4_f64 a[160+0:167+0], v[vgprValuB_X0_I0+8+0+0:vgprValuB_X0_I0+8+0+0+1], v[vgprValuA_X0_I0+8+0+0+2:vgprValuA_X0_I0+8+0+0+2+1], a[160:167]
 // Ci += Ai*Br
/*  mfmaIndex:138  */
/* localReadsVacancy: latencyLeft 5 */
v_mfma_f64_16x16x4_f64 a[64+0:71+0], v[vgprValuB_X0_I0+8+0+0+2:vgprValuB_X0_I0+8+0+0+2+1], v[120:121], a[64:71]
 // Cr += -Ai*Bi
/*  mfmaIndex:139  */
/* localReadsVacancy: latencyLeft 5 */
v_mfma_f64_16x16x4_f64 a[160+0:167+0], v[vgprValuB_X0_I0+8+0+0+2:vgprValuB_X0_I0+8+0+0+2+1], v[vgprValuA_X0_I0+8+0+0:vgprValuA_X0_I0+8+0+0+1], a[160:167]
 // Ci += Ar*Bi
/*  mfmaIndex:140  */
/* localReadsVacancy: latencyLeft 5 */
v_mfma_f64_16x16x4_f64 a[88+0:95+0], v[vgprValuB_X0_I0+12+0+0:vgprValuB_X0_I0+12+0+0+1], v[vgprValuA_X0_I0+8+0+0:vgprValuA_X0_I0+8+0+0+1], a[88:95]
 // Cr += Ar*Br
/*  mfmaIndex:141  */
/* localReadsVacancy: latencyLeft 5 */
v_mfma_f64_16x16x4_f64 a[184+0:191+0], v[vgprValuB_X0_I0+12+0+0:vgprValuB_X0_I0+12+0+0+1], v[vgprValuA_X0_I0+8+0+0+2:vgprValuA_X0_I0+8+0+0+2+1], a[184:191]
 // Ci += Ai*Br
/*  mfmaIndex:142  */
/* localReadsVacancy: latencyLeft 5 */
v_mfma_f64_16x16x4_f64 a[88+0:95+0], v[vgprValuB_X0_I0+12+0+0+2:vgprValuB_X0_I0+12+0+0+2+1], v[120:121], a[88:95]
 // Cr += -Ai*Bi
/*  mfmaIndex:143  */
/* localReadsVacancy: latencyLeft 5 */
v_mfma_f64_16x16x4_f64 a[184+0:191+0], v[vgprValuB_X0_I0+12+0+0+2:vgprValuB_X0_I0+12+0+0+2+1], v[vgprValuA_X0_I0+8+0+0:vgprValuA_X0_I0+8+0+0+1], a[184:191]
 // Ci += Ar*Bi
/* numPrefetchIter=0 */
/* dataAtIterA=1 numReadsIterA=3 skipReadsIterA=1 readsPerIterA=3 */
/* dataAtIterB=1 numReadsIterB=3 skipReadsIterB=1 readsPerIterB=4 */


/* iter 3 (last unrolled loop) */

/*  grEndMfmaIndex:0, lwStartMfmaIndex:178, lwEndMfmaIndex:178  */
/*  numMfmaForLR:11, barrierMfmaIndex:180, LocalWritePerMfma:0.190 */
/*  mfmaIndex:144  */
s_waitcnt lgkmcnt(0)                               // lgkmcnt=0 vmcnt=-1wait for prior local read local write old=0, new=0 newLW=0 newLR=0
v_add_f64 v[120:121], -v[vgprValuA_X1_I0+0+0+0+2:vgprValuA_X1_I0+0+0+0+2+1], 0 // Ai=-Ai
v_mfma_f64_16x16x4_f64 a[0+0:7+0], v[vgprValuB_X1_I0+0+0+0:vgprValuB_X1_I0+0+0+0+1], v[vgprValuA_X1_I0+0+0+0:vgprValuA_X1_I0+0+0+0+1], a[0:7]
 // Cr += Ar*Br
/*  mfmaIndex:145  */
v_mfma_f64_16x16x4_f64 a[96+0:103+0], v[vgprValuB_X1_I0+0+0+0:vgprValuB_X1_I0+0+0+0+1], v[vgprValuA_X1_I0+0+0+0+2:vgprValuA_X1_I0+0+0+0+2+1], a[96:103]
 // Ci += Ai*Br
/*  mfmaIndex:146  */
v_mfma_f64_16x16x4_f64 a[0+0:7+0], v[vgprValuB_X1_I0+0+0+0+2:vgprValuB_X1_I0+0+0+0+2+1], v[120:121], a[0:7]
 // Cr += -Ai*Bi
/*  mfmaIndex:147  */
v_mfma_f64_16x16x4_f64 a[96+0:103+0], v[vgprValuB_X1_I0+0+0+0+2:vgprValuB_X1_I0+0+0+0+2+1], v[vgprValuA_X1_I0+0+0+0:vgprValuA_X1_I0+0+0+0+1], a[96:103]
 // Ci += Ar*Bi
/*  mfmaIndex:148  */
v_mfma_f64_16x16x4_f64 a[24+0:31+0], v[vgprValuB_X1_I0+4+0+0:vgprValuB_X1_I0+4+0+0+1], v[vgprValuA_X1_I0+0+0+0:vgprValuA_X1_I0+0+0+0+1], a[24:31]
 // Cr += Ar*Br
/*  mfmaIndex:149  */
v_mfma_f64_16x16x4_f64 a[120+0:127+0], v[vgprValuB_X1_I0+4+0+0:vgprValuB_X1_I0+4+0+0+1], v[vgprValuA_X1_I0+0+0+0+2:vgprValuA_X1_I0+0+0+0+2+1], a[120:127]
 // Ci += Ai*Br
/*  mfmaIndex:150  */
v_mfma_f64_16x16x4_f64 a[24+0:31+0], v[vgprValuB_X1_I0+4+0+0+2:vgprValuB_X1_I0+4+0+0+2+1], v[120:121], a[24:31]
 // Cr += -Ai*Bi
/*  mfmaIndex:151  */
v_mfma_f64_16x16x4_f64 a[120+0:127+0], v[vgprValuB_X1_I0+4+0+0+2:vgprValuB_X1_I0+4+0+0+2+1], v[vgprValuA_X1_I0+0+0+0:vgprValuA_X1_I0+0+0+0+1], a[120:127]
 // Ci += Ar*Bi
/*  mfmaIndex:152  */
	;; [unrolled: 12-line block ×4, first 2 shown]
v_add_f64 v[120:121], -v[vgprValuA_X1_I0+4+0+0+2:vgprValuA_X1_I0+4+0+0+2+1], 0 // Ai=-Ai
v_mfma_f64_16x16x4_f64 a[8+0:15+0], v[vgprValuB_X1_I0+0+0+0:vgprValuB_X1_I0+0+0+0+1], v[vgprValuA_X1_I0+4+0+0:vgprValuA_X1_I0+4+0+0+1], a[8:15]
 // Cr += Ar*Br
/*  mfmaIndex:161  */
v_mfma_f64_16x16x4_f64 a[104+0:111+0], v[vgprValuB_X1_I0+0+0+0:vgprValuB_X1_I0+0+0+0+1], v[vgprValuA_X1_I0+4+0+0+2:vgprValuA_X1_I0+4+0+0+2+1], a[104:111]
 // Ci += Ai*Br
/*  mfmaIndex:162  */
v_mfma_f64_16x16x4_f64 a[8+0:15+0], v[vgprValuB_X1_I0+0+0+0+2:vgprValuB_X1_I0+0+0+0+2+1], v[120:121], a[8:15]
 // Cr += -Ai*Bi
/*  mfmaIndex:163  */
v_mfma_f64_16x16x4_f64 a[104+0:111+0], v[vgprValuB_X1_I0+0+0+0+2:vgprValuB_X1_I0+0+0+0+2+1], v[vgprValuA_X1_I0+4+0+0:vgprValuA_X1_I0+4+0+0+1], a[104:111]
 // Ci += Ar*Bi
/*  mfmaIndex:164  */
v_mfma_f64_16x16x4_f64 a[32+0:39+0], v[vgprValuB_X1_I0+4+0+0:vgprValuB_X1_I0+4+0+0+1], v[vgprValuA_X1_I0+4+0+0:vgprValuA_X1_I0+4+0+0+1], a[32:39]
 // Cr += Ar*Br
/*  mfmaIndex:165  */
v_mfma_f64_16x16x4_f64 a[128+0:135+0], v[vgprValuB_X1_I0+4+0+0:vgprValuB_X1_I0+4+0+0+1], v[vgprValuA_X1_I0+4+0+0+2:vgprValuA_X1_I0+4+0+0+2+1], a[128:135]
 // Ci += Ai*Br
/*  mfmaIndex:166  */
v_mfma_f64_16x16x4_f64 a[32+0:39+0], v[vgprValuB_X1_I0+4+0+0+2:vgprValuB_X1_I0+4+0+0+2+1], v[120:121], a[32:39]
 // Cr += -Ai*Bi
/*  mfmaIndex:167  */
v_mfma_f64_16x16x4_f64 a[128+0:135+0], v[vgprValuB_X1_I0+4+0+0+2:vgprValuB_X1_I0+4+0+0+2+1], v[vgprValuA_X1_I0+4+0+0:vgprValuA_X1_I0+4+0+0+1], a[128:135]
 // Ci += Ar*Bi
/*  mfmaIndex:168  */
	;; [unrolled: 12-line block ×4, first 2 shown]
v_add_f64 v[120:121], -v[vgprValuA_X1_I0+8+0+0+2:vgprValuA_X1_I0+8+0+0+2+1], 0 // Ai=-Ai
v_mfma_f64_16x16x4_f64 a[16+0:23+0], v[vgprValuB_X1_I0+0+0+0:vgprValuB_X1_I0+0+0+0+1], v[vgprValuA_X1_I0+8+0+0:vgprValuA_X1_I0+8+0+0+1], a[16:23]
 // Cr += Ar*Br
/*  mfmaIndex:177  */
/* 1 LDS buffer: read-sync-write */
s_waitcnt lgkmcnt(0)                               // 
s_barrier                                          // 
v_mfma_f64_16x16x4_f64 a[112+0:119+0], v[vgprValuB_X1_I0+0+0+0:vgprValuB_X1_I0+0+0+0+1], v[vgprValuA_X1_I0+8+0+0+2:vgprValuA_X1_I0+8+0+0+2+1], a[112:119]
 // Ci += Ai*Br
/*  mfmaIndex:178  */
s_setprio 3                                        // store optimization
v_mfma_f64_16x16x4_f64 a[16+0:23+0], v[vgprValuB_X1_I0+0+0+0+2:vgprValuB_X1_I0+0+0+0+2+1], v[120:121], a[16:23]
 // Cr += -Ai*Bi
/*  mfmaIndex:179  */
v_mfma_f64_16x16x4_f64 a[112+0:119+0], v[vgprValuB_X1_I0+0+0+0+2:vgprValuB_X1_I0+0+0+0+2+1], v[vgprValuA_X1_I0+8+0+0:vgprValuA_X1_I0+8+0+0+1], a[112:119]
 // Ci += Ar*Bi
s_setprio 0                                        // store optimization
/*  mfmaIndex:180  */
v_mfma_f64_16x16x4_f64 a[40+0:47+0], v[vgprValuB_X1_I0+4+0+0:vgprValuB_X1_I0+4+0+0+1], v[vgprValuA_X1_I0+8+0+0:vgprValuA_X1_I0+8+0+0+1], a[40:47]
 // Cr += Ar*Br
/*  mfmaIndex:181  */
s_setprio 3                                        // store optimization
v_mfma_f64_16x16x4_f64 a[136+0:143+0], v[vgprValuB_X1_I0+4+0+0:vgprValuB_X1_I0+4+0+0+1], v[vgprValuA_X1_I0+8+0+0+2:vgprValuA_X1_I0+8+0+0+2+1], a[136:143]
 // Ci += Ai*Br
/*  mfmaIndex:182  */
v_mfma_f64_16x16x4_f64 a[40+0:47+0], v[vgprValuB_X1_I0+4+0+0+2:vgprValuB_X1_I0+4+0+0+2+1], v[120:121], a[40:47]
 // Cr += -Ai*Bi
/*  mfmaIndex:183  */
v_mfma_f64_16x16x4_f64 a[136+0:143+0], v[vgprValuB_X1_I0+4+0+0+2:vgprValuB_X1_I0+4+0+0+2+1], v[vgprValuA_X1_I0+8+0+0:vgprValuA_X1_I0+8+0+0+1], a[136:143]
 // Ci += Ar*Bi
/*  mfmaIndex:184  */
v_mfma_f64_16x16x4_f64 a[64+0:71+0], v[vgprValuB_X1_I0+8+0+0:vgprValuB_X1_I0+8+0+0+1], v[vgprValuA_X1_I0+8+0+0:vgprValuA_X1_I0+8+0+0+1], a[64:71]
 // Cr += Ar*Br
/*  mfmaIndex:185  */
v_mfma_f64_16x16x4_f64 a[160+0:167+0], v[vgprValuB_X1_I0+8+0+0:vgprValuB_X1_I0+8+0+0+1], v[vgprValuA_X1_I0+8+0+0+2:vgprValuA_X1_I0+8+0+0+2+1], a[160:167]
 // Ci += Ai*Br
/*  mfmaIndex:186  */
v_mfma_f64_16x16x4_f64 a[64+0:71+0], v[vgprValuB_X1_I0+8+0+0+2:vgprValuB_X1_I0+8+0+0+2+1], v[120:121], a[64:71]
 // Cr += -Ai*Bi
/*  mfmaIndex:187  */
v_mfma_f64_16x16x4_f64 a[160+0:167+0], v[vgprValuB_X1_I0+8+0+0+2:vgprValuB_X1_I0+8+0+0+2+1], v[vgprValuA_X1_I0+8+0+0:vgprValuA_X1_I0+8+0+0+1], a[160:167]
 // Ci += Ar*Bi
/*  mfmaIndex:188  */
v_mfma_f64_16x16x4_f64 a[88+0:95+0], v[vgprValuB_X1_I0+12+0+0:vgprValuB_X1_I0+12+0+0+1], v[vgprValuA_X1_I0+8+0+0:vgprValuA_X1_I0+8+0+0+1], a[88:95]
 // Cr += Ar*Br
/*  mfmaIndex:189  */
v_mfma_f64_16x16x4_f64 a[184+0:191+0], v[vgprValuB_X1_I0+12+0+0:vgprValuB_X1_I0+12+0+0+1], v[vgprValuA_X1_I0+8+0+0+2:vgprValuA_X1_I0+8+0+0+2+1], a[184:191]
 // Ci += Ai*Br
/*  mfmaIndex:190  */
v_mfma_f64_16x16x4_f64 a[88+0:95+0], v[vgprValuB_X1_I0+12+0+0+2:vgprValuB_X1_I0+12+0+0+2+1], v[120:121], a[88:95]
 // Cr += -Ai*Bi
/*  mfmaIndex:191  */
v_mfma_f64_16x16x4_f64 a[184+0:191+0], v[vgprValuB_X1_I0+12+0+0+2:vgprValuB_X1_I0+12+0+0+2+1], v[vgprValuA_X1_I0+8+0+0:vgprValuA_X1_I0+8+0+0+1], a[184:191]
 // Ci += Ar*Bi
/* numPrefetchIter=0 */
/* dataAtIterA=2 numReadsIterA=3 skipReadsIterA=0 readsPerIterA=3 */
/* dataAtIterB=2 numReadsIterB=3 skipReadsIterB=0 readsPerIterB=4 */

PrefetchGlobalLastIterEnd_5:


/******************************************/
/* Tail Loop                              */
/******************************************/


/* local write reset offsets a */




/* local write reset offsets b */


	;; [unrolled: 1-line block ×4, first 2 shown]
//numIterL = (((sizeL % LOCAL_DEPTHU) + LOCAL_SPLITU - 1) / LOCAL_SPLITU)
s_and_b32 s[sgprLoopCounterL], 15, s[sgprSizesSum+0] // s[sgprLoopCounterL] = s[sgprSizesSum+0] % 16
s_cmp_eq_u32 s[sgprLoopCounterL], 0x0              // numIterL == 0
s_cbranch_scc1 SkipTailLoopL_8                     // skip to end of tail loop b/c numIter==0
s_mov_b32 s[sgprOrigLoopCounter], 0                // repurpose to count each localRead increment


/* remove stagger offsets for tail loop */

s_mov_b32 s78, 3                                   // 
s_mul_hi_u32 s77, s78, s[sgprGlobalReadIncsA+0]    // 3 * GlobalReadIncs
s_mul_i32 s76, s78, s[sgprGlobalReadIncsA+0]       // 3 * GlobalReadIncs
s_mul_hi_u32 s79, s[sgprStaggerUIter], s[sgprGlobalReadIncsA+0] // StaggerUIter * GlobalReadIncs
s_mul_i32 s78, s[sgprStaggerUIter], s[sgprGlobalReadIncsA+0] // StaggerUIter * GlobalReadIncs
s_sub_u32 s76, s76, s78                            // start offset S in bytes
s_subb_u32 s77, s77, s79                           // start offset S in bytes
s_sub_u32 s76, s76, s[sgprWrapUA]                  // S - WrapU
s_subb_u32 s77, s77, s[sgprWrapUA+1]               // S - WrapU
s_add_u32 s[sgprSrdA+0], s[sgprSrdA+0], s76        // gra SRD += inc(lower)
s_addc_u32  s[sgprSrdA+1], s[sgprSrdA+1], s77      // gra SRD += inc(upper)
s_sub_u32 s[sgprShadowLimitA+0], s[sgprShadowLimitA+0], s76 // limit -= inc)
s_subb_u32 s[sgprShadowLimitA+1], s[sgprShadowLimitA+1], s77 // limit -= inc)
s_cmp_eq_u32 s[sgprShadowLimitA+1], 0              // are we within 2^32?
s_cselect_b32 s[sgprSrdA+2], s[sgprShadowLimitA+0], BufferLimitA // Move shadow to real if we are within 2^32

s_mov_b32 s78, 3                                   // 
s_mul_hi_u32 s77, s78, s[sgprGlobalReadIncsB+0]    // 3 * GlobalReadIncs
s_mul_i32 s76, s78, s[sgprGlobalReadIncsB+0]       // 3 * GlobalReadIncs
s_mul_hi_u32 s79, s[sgprStaggerUIter], s[sgprGlobalReadIncsB+0] // StaggerUIter * GlobalReadIncs
s_mul_i32 s78, s[sgprStaggerUIter], s[sgprGlobalReadIncsB+0] // StaggerUIter * GlobalReadIncs
s_sub_u32 s76, s76, s78                            // start offset S in bytes
s_subb_u32 s77, s77, s79                           // start offset S in bytes
s_sub_u32 s76, s76, s[sgprWrapUB]                  // S - WrapU
s_subb_u32 s77, s77, s[sgprWrapUB+1]               // S - WrapU
s_add_u32 s[sgprSrdB+0], s[sgprSrdB+0], s76        // gra SRD += inc(lower)
s_addc_u32  s[sgprSrdB+1], s[sgprSrdB+1], s77      // gra SRD += inc(upper)
s_sub_u32 s[sgprShadowLimitB+0], s[sgprShadowLimitB+0], s76 // limit -= inc)
s_subb_u32 s[sgprShadowLimitB+1], s[sgprShadowLimitB+1], s77 // limit -= inc)
s_cmp_eq_u32 s[sgprShadowLimitB+1], 0              // are we within 2^32?
s_cselect_b32 s[sgprSrdB+2], s[sgprShadowLimitB+0], BufferLimitB // Move shadow to real if we are within 2^32


/* Update M0 for DTLDS */


	;; [unrolled: 1-line block ×3, first 2 shown]
/* global read a */

/* g2l=0, load component 0 */
_buffer_load_b128 v[vgprG2LA+0+0:vgprG2LA+0+0+3], v[vgprGlobalReadOffsetA+0], s[sgprSrdA:sgprSrdA+3], 0, offen offset:0 // load one buffer value
/* g2l=4, load component 0 */
_buffer_load_b128 v[vgprG2LA+4+0:vgprG2LA+4+0+3], v[vgprGlobalReadOffsetA+0], s[sgprSrdA:sgprSrdA+3], s[sgprScalarGlobalReadOffsetA+0], offen offset:0 // load one buffer value
/* g2l=8, load component 0 */
_buffer_load_b128 v[vgprG2LA+8+0:vgprG2LA+8+0+3], v[vgprGlobalReadOffsetA+0], s[sgprSrdA:sgprSrdA+3], s[sgprScalarGlobalReadOffsetA+1], offen offset:0 // load one buffer value
	;; [unrolled: 2-line block ×5, first 2 shown]


/* Update M0 for DTLDS */


	;; [unrolled: 1-line block ×3, first 2 shown]
/* global read b */

/* g2l=0, load component 0 */
_buffer_load_b128 v[vgprG2LB+0+0:vgprG2LB+0+0+3], v[vgprGlobalReadOffsetB+0], s[sgprSrdB:sgprSrdB+3], 0, offen offset:0 // load one buffer value
/* g2l=4, load component 0 */
_buffer_load_b128 v[vgprG2LB+4+0:vgprG2LB+4+0+3], v[vgprGlobalReadOffsetB+0], s[sgprSrdB:sgprSrdB+3], s[sgprScalarGlobalReadOffsetB+0], offen offset:0 // load one buffer value
/* g2l=8, load component 0 */
_buffer_load_b128 v[vgprG2LB+8+0:vgprG2LB+8+0+3], v[vgprGlobalReadOffsetB+0], s[sgprSrdB:sgprSrdB+3], s[sgprScalarGlobalReadOffsetB+1], offen offset:0 // load one buffer value
	;; [unrolled: 2-line block ×7, first 2 shown]

s_waitcnt vmcnt(0)                                 // lgkmcnt=-1 vmcnt=02wait for global read

// Skip force waitcnt0
s_barrier //


/* Done global A/B reads */


	;; [unrolled: 1-line block ×4, first 2 shown]
/* local write a */

_ds_store_b128 v[vgprLocalWriteAddrA], v[vgprG2LA+0:vgprG2LA+0+3] offset:0 // lwoA_0_0_0_0 = (0*LSCA)*(MT0I+PAD) + (0*LSPA) = 0
_ds_store_b128 v[vgprLocalWriteAddrA], v[vgprG2LA+4:vgprG2LA+4+3] offset:4608 // lwoA_0_0_1_0 = (0*LSCA)*(MT0I+PAD) + (1*LSPA) = 4608
_ds_store_b128 v[vgprLocalWriteAddrA], v[vgprG2LA+8:vgprG2LA+8+3] offset:9216 // lwoA_0_0_2_0 = (0*LSCA)*(MT0I+PAD) + (2*LSPA) = 9216
_ds_store_b128 v[vgprLocalWriteAddrA], v[vgprG2LA+12:vgprG2LA+12+3] offset:13824 // lwoA_0_0_3_0 = (0*LSCA)*(MT0I+PAD) + (3*LSPA) = 13824
_ds_store_b128 v[vgprLocalWriteAddrA], v[vgprG2LA+16:vgprG2LA+16+3] offset:18432 // lwoA_0_0_4_0 = (0*LSCA)*(MT0I+PAD) + (4*LSPA) = 18432
_ds_store_b128 v[vgprLocalWriteAddrA], v[vgprG2LA+20:vgprG2LA+20+3] offset:23040 // lwoA_0_0_5_0 = (0*LSCA)*(MT0I+PAD) + (5*LSPA) = 23040


/* local write b */

_ds_store_b128 v[vgprLocalWriteAddrB], v[vgprG2LB+0:vgprG2LB+0+3] offset:0 // lwoB_0_0_0_0 = (0*LSCB) + (0*LSPB)(*MT1J+PAD) = 0
_ds_store_b128 v[vgprLocalWriteAddrB], v[vgprG2LB+4:vgprG2LB+4+3] offset:4096 // lwoB_0_0_1_0 = (0*LSCB) + (1*LSPB)(*MT1J+PAD) = 4096
_ds_store_b128 v[vgprLocalWriteAddrB], v[vgprG2LB+8:vgprG2LB+8+3] offset:8192 // lwoB_0_0_2_0 = (0*LSCB) + (2*LSPB)(*MT1J+PAD) = 8192
_ds_store_b128 v[vgprLocalWriteAddrB], v[vgprG2LB+12:vgprG2LB+12+3] offset:12288 // lwoB_0_0_3_0 = (0*LSCB) + (3*LSPB)(*MT1J+PAD) = 12288
_ds_store_b128 v[vgprLocalWriteAddrB], v[vgprG2LB+16:vgprG2LB+16+3] offset:16384 // lwoB_0_0_4_0 = (0*LSCB) + (4*LSPB)(*MT1J+PAD) = 16384
_ds_store_b128 v[vgprLocalWriteAddrB], v[vgprG2LB+20:vgprG2LB+20+3] offset:20480 // lwoB_0_0_5_0 = (0*LSCB) + (5*LSPB)(*MT1J+PAD) = 20480
_ds_store_b128 v[vgprLocalWriteAddrB], v[vgprG2LB+24:vgprG2LB+24+3] offset:24576 // lwoB_0_0_6_0 = (0*LSCB) + (6*LSPB)(*MT1J+PAD) = 24576
_ds_store_b128 v[vgprLocalWriteAddrB], v[vgprG2LB+28:vgprG2LB+28+3] offset:28672 // lwoB_0_0_7_0 = (0*LSCB) + (7*LSPB)(*MT1J+PAD) = 28672


/* Recalc local read offsets */


s_waitcnt lgkmcnt(0)                               // lgkmcnt=0 vmcnt=-15wait for local write

// Skip force waitcnt0
s_barrier //


/* local read reset offsets a */


	;; [unrolled: 1-line block ×3, first 2 shown]
/* local read reset offsets b */


	;; [unrolled: 1-line block ×3, first 2 shown]
/* local read init pointers a */


/* localReadInitPointers */


/* local read init pointers b */


/* localReadInitPointers */


/* tail loop: macs */

TailLoopBeginL_6:


/* tail loop unroll iter 0 */


/* local read a */

_ds_load_b128 v[vgprValuA_X0_I0+0:vgprValuA_X0_I0+0+3], v[vgprLocalReadAddrA] offset:0 // L -> Reg lro=0 swapByteOffset=0 ti=32 vIdx=0 rIdx=0 oIdx=0 buffer=0 iui=0
_ds_load_b128 v[vgprValuA_X0_I0+4:vgprValuA_X0_I0+4+3], v[vgprLocalReadAddrA] offset:9216 // L -> Reg lro=0 swapByteOffset=0 ti=32 vIdx=1 rIdx=0 oIdx=0 buffer=0 iui=0
	;; [unrolled: 1-line block ×3, first 2 shown]


/* local read b */

_ds_load_b128 v[vgprValuB_X0_I0+0:vgprValuB_X0_I0+0+3], v[vgprLocalReadAddrB] offset:0 // L -> Reg lro=0 swapByteOffset=0 ti=32 vIdx=0 rIdx=0 oIdx=0 buffer=0 iui=0
_ds_load_b128 v[vgprValuB_X0_I0+4:vgprValuB_X0_I0+4+3], v[vgprLocalReadAddrB] offset:512 // L -> Reg lro=0 swapByteOffset=0 ti=32 vIdx=1 rIdx=0 oIdx=0 buffer=0 iui=0
	;; [unrolled: 1-line block ×4, first 2 shown]


/* local read inc a */

s_mov_b32 s62, 0x40                                // inc
_v_add_co_u32 v[vgprLocalReadAddrA], vcc, s62, v[vgprLocalReadAddrA] // lrA += 64 (LSU*bpe)


/* local read inc b */

s_mov_b32 s62, 0x2000                              // inc
_v_add_co_u32 v[vgprLocalReadAddrB], vcc, s62, v[vgprLocalReadAddrB] // lrB += 8192 (LSU*(MT+PAD)*bpe)

s_waitcnt lgkmcnt(0)                               // lgkmcnt=0 vmcnt=-14wait for local read


	;; [unrolled: 1-line block ×3, first 2 shown]
/* tail loop mfma iter 0: numReadsIterCoalescedA=1, numReadsIterCoalescedB=1 */
v_and_b32 v119, 63, v[vgprSerial]                  // v119 = v[vgprSerial] % 64
v_lshrrev_b32 v119, 4, v119                        // v119 = v119 / 16
                                                   // v119 = v119 * 1 (multiplier is 1, do nothing)
v_cmp_ge_i32 s[76:77], v119, s[sgprLoopCounterL]   // check K index >= Size L
v_cndmask_b32 v[vgprValuA_X0_I0+0+0+0+0], v[vgprValuA_X0_I0+0+0+0+0], 0x0, s[76:77] // set 0 if K_idx >= sizeL
v_cndmask_b32 v[vgprValuA_X0_I0+4+0+0+0], v[vgprValuA_X0_I0+4+0+0+0], 0x0, s[76:77] // set 0 if K_idx >= sizeL
	;; [unrolled: 1-line block ×12, first 2 shown]
s_nop 1
v_add_f64 v[120:121], -v[vgprValuA_X0_I0+0+0+0+2:vgprValuA_X0_I0+0+0+0+2+1], 0 // Ai=-Ai
v_mfma_f64_16x16x4_f64 a[0+0:7+0], v[vgprValuB_X0_I0+0+0+0:vgprValuB_X0_I0+0+0+0+1], v[vgprValuA_X0_I0+0+0+0:vgprValuA_X0_I0+0+0+0+1], a[0:7]
 // Cr += Ar*Br
v_mfma_f64_16x16x4_f64 a[96+0:103+0], v[vgprValuB_X0_I0+0+0+0:vgprValuB_X0_I0+0+0+0+1], v[vgprValuA_X0_I0+0+0+0+2:vgprValuA_X0_I0+0+0+0+2+1], a[96:103]
 // Ci += Ai*Br
v_mfma_f64_16x16x4_f64 a[0+0:7+0], v[vgprValuB_X0_I0+0+0+0+2:vgprValuB_X0_I0+0+0+0+2+1], v[120:121], a[0:7]
 // Cr += -Ai*Bi
v_mfma_f64_16x16x4_f64 a[96+0:103+0], v[vgprValuB_X0_I0+0+0+0+2:vgprValuB_X0_I0+0+0+0+2+1], v[vgprValuA_X0_I0+0+0+0:vgprValuA_X0_I0+0+0+0+1], a[96:103]
 // Ci += Ar*Bi
v_mfma_f64_16x16x4_f64 a[24+0:31+0], v[vgprValuB_X0_I0+4+0+0:vgprValuB_X0_I0+4+0+0+1], v[vgprValuA_X0_I0+0+0+0:vgprValuA_X0_I0+0+0+0+1], a[24:31]
 // Cr += Ar*Br
v_mfma_f64_16x16x4_f64 a[120+0:127+0], v[vgprValuB_X0_I0+4+0+0:vgprValuB_X0_I0+4+0+0+1], v[vgprValuA_X0_I0+0+0+0+2:vgprValuA_X0_I0+0+0+0+2+1], a[120:127]
 // Ci += Ai*Br
v_mfma_f64_16x16x4_f64 a[24+0:31+0], v[vgprValuB_X0_I0+4+0+0+2:vgprValuB_X0_I0+4+0+0+2+1], v[120:121], a[24:31]
 // Cr += -Ai*Bi
v_mfma_f64_16x16x4_f64 a[120+0:127+0], v[vgprValuB_X0_I0+4+0+0+2:vgprValuB_X0_I0+4+0+0+2+1], v[vgprValuA_X0_I0+0+0+0:vgprValuA_X0_I0+0+0+0+1], a[120:127]
 // Ci += Ar*Bi
v_mfma_f64_16x16x4_f64 a[48+0:55+0], v[vgprValuB_X0_I0+8+0+0:vgprValuB_X0_I0+8+0+0+1], v[vgprValuA_X0_I0+0+0+0:vgprValuA_X0_I0+0+0+0+1], a[48:55]
 // Cr += Ar*Br
v_mfma_f64_16x16x4_f64 a[144+0:151+0], v[vgprValuB_X0_I0+8+0+0:vgprValuB_X0_I0+8+0+0+1], v[vgprValuA_X0_I0+0+0+0+2:vgprValuA_X0_I0+0+0+0+2+1], a[144:151]
 // Ci += Ai*Br
v_mfma_f64_16x16x4_f64 a[48+0:55+0], v[vgprValuB_X0_I0+8+0+0+2:vgprValuB_X0_I0+8+0+0+2+1], v[120:121], a[48:55]
 // Cr += -Ai*Bi
v_mfma_f64_16x16x4_f64 a[144+0:151+0], v[vgprValuB_X0_I0+8+0+0+2:vgprValuB_X0_I0+8+0+0+2+1], v[vgprValuA_X0_I0+0+0+0:vgprValuA_X0_I0+0+0+0+1], a[144:151]
 // Ci += Ar*Bi
v_mfma_f64_16x16x4_f64 a[72+0:79+0], v[vgprValuB_X0_I0+12+0+0:vgprValuB_X0_I0+12+0+0+1], v[vgprValuA_X0_I0+0+0+0:vgprValuA_X0_I0+0+0+0+1], a[72:79]
 // Cr += Ar*Br
v_mfma_f64_16x16x4_f64 a[168+0:175+0], v[vgprValuB_X0_I0+12+0+0:vgprValuB_X0_I0+12+0+0+1], v[vgprValuA_X0_I0+0+0+0+2:vgprValuA_X0_I0+0+0+0+2+1], a[168:175]
 // Ci += Ai*Br
v_mfma_f64_16x16x4_f64 a[72+0:79+0], v[vgprValuB_X0_I0+12+0+0+2:vgprValuB_X0_I0+12+0+0+2+1], v[120:121], a[72:79]
 // Cr += -Ai*Bi
v_mfma_f64_16x16x4_f64 a[168+0:175+0], v[vgprValuB_X0_I0+12+0+0+2:vgprValuB_X0_I0+12+0+0+2+1], v[vgprValuA_X0_I0+0+0+0:vgprValuA_X0_I0+0+0+0+1], a[168:175]
 // Ci += Ar*Bi
v_add_f64 v[120:121], -v[vgprValuA_X0_I0+4+0+0+2:vgprValuA_X0_I0+4+0+0+2+1], 0 // Ai=-Ai
v_mfma_f64_16x16x4_f64 a[8+0:15+0], v[vgprValuB_X0_I0+0+0+0:vgprValuB_X0_I0+0+0+0+1], v[vgprValuA_X0_I0+4+0+0:vgprValuA_X0_I0+4+0+0+1], a[8:15]
 // Cr += Ar*Br
v_mfma_f64_16x16x4_f64 a[104+0:111+0], v[vgprValuB_X0_I0+0+0+0:vgprValuB_X0_I0+0+0+0+1], v[vgprValuA_X0_I0+4+0+0+2:vgprValuA_X0_I0+4+0+0+2+1], a[104:111]
 // Ci += Ai*Br
v_mfma_f64_16x16x4_f64 a[8+0:15+0], v[vgprValuB_X0_I0+0+0+0+2:vgprValuB_X0_I0+0+0+0+2+1], v[120:121], a[8:15]
 // Cr += -Ai*Bi
v_mfma_f64_16x16x4_f64 a[104+0:111+0], v[vgprValuB_X0_I0+0+0+0+2:vgprValuB_X0_I0+0+0+0+2+1], v[vgprValuA_X0_I0+4+0+0:vgprValuA_X0_I0+4+0+0+1], a[104:111]
 // Ci += Ar*Bi
v_mfma_f64_16x16x4_f64 a[32+0:39+0], v[vgprValuB_X0_I0+4+0+0:vgprValuB_X0_I0+4+0+0+1], v[vgprValuA_X0_I0+4+0+0:vgprValuA_X0_I0+4+0+0+1], a[32:39]
 // Cr += Ar*Br
v_mfma_f64_16x16x4_f64 a[128+0:135+0], v[vgprValuB_X0_I0+4+0+0:vgprValuB_X0_I0+4+0+0+1], v[vgprValuA_X0_I0+4+0+0+2:vgprValuA_X0_I0+4+0+0+2+1], a[128:135]
 // Ci += Ai*Br
v_mfma_f64_16x16x4_f64 a[32+0:39+0], v[vgprValuB_X0_I0+4+0+0+2:vgprValuB_X0_I0+4+0+0+2+1], v[120:121], a[32:39]
 // Cr += -Ai*Bi
v_mfma_f64_16x16x4_f64 a[128+0:135+0], v[vgprValuB_X0_I0+4+0+0+2:vgprValuB_X0_I0+4+0+0+2+1], v[vgprValuA_X0_I0+4+0+0:vgprValuA_X0_I0+4+0+0+1], a[128:135]
 // Ci += Ar*Bi
v_mfma_f64_16x16x4_f64 a[56+0:63+0], v[vgprValuB_X0_I0+8+0+0:vgprValuB_X0_I0+8+0+0+1], v[vgprValuA_X0_I0+4+0+0:vgprValuA_X0_I0+4+0+0+1], a[56:63]
 // Cr += Ar*Br
v_mfma_f64_16x16x4_f64 a[152+0:159+0], v[vgprValuB_X0_I0+8+0+0:vgprValuB_X0_I0+8+0+0+1], v[vgprValuA_X0_I0+4+0+0+2:vgprValuA_X0_I0+4+0+0+2+1], a[152:159]
 // Ci += Ai*Br
v_mfma_f64_16x16x4_f64 a[56+0:63+0], v[vgprValuB_X0_I0+8+0+0+2:vgprValuB_X0_I0+8+0+0+2+1], v[120:121], a[56:63]
 // Cr += -Ai*Bi
v_mfma_f64_16x16x4_f64 a[152+0:159+0], v[vgprValuB_X0_I0+8+0+0+2:vgprValuB_X0_I0+8+0+0+2+1], v[vgprValuA_X0_I0+4+0+0:vgprValuA_X0_I0+4+0+0+1], a[152:159]
 // Ci += Ar*Bi
v_mfma_f64_16x16x4_f64 a[80+0:87+0], v[vgprValuB_X0_I0+12+0+0:vgprValuB_X0_I0+12+0+0+1], v[vgprValuA_X0_I0+4+0+0:vgprValuA_X0_I0+4+0+0+1], a[80:87]
 // Cr += Ar*Br
v_mfma_f64_16x16x4_f64 a[176+0:183+0], v[vgprValuB_X0_I0+12+0+0:vgprValuB_X0_I0+12+0+0+1], v[vgprValuA_X0_I0+4+0+0+2:vgprValuA_X0_I0+4+0+0+2+1], a[176:183]
 // Ci += Ai*Br
v_mfma_f64_16x16x4_f64 a[80+0:87+0], v[vgprValuB_X0_I0+12+0+0+2:vgprValuB_X0_I0+12+0+0+2+1], v[120:121], a[80:87]
 // Cr += -Ai*Bi
v_mfma_f64_16x16x4_f64 a[176+0:183+0], v[vgprValuB_X0_I0+12+0+0+2:vgprValuB_X0_I0+12+0+0+2+1], v[vgprValuA_X0_I0+4+0+0:vgprValuA_X0_I0+4+0+0+1], a[176:183]
 // Ci += Ar*Bi
	;; [unrolled: 33-line block ×3, first 2 shown]


/* closeLoop loopL finalLoop=0 tailLoop=1 */
s_sub_i32 s[sgprLoopCounterL], s[sgprLoopCounterL], 0x4 // dec counterL (tailLoop)
s_add_u32 s[sgprOrigLoopCounter], s[sgprOrigLoopCounter], 0x4 // inc counterL
s_cmp_le_i32 s[sgprLoopCounterL], 0x0              // counterL<=0
s_cbranch_scc1 TailLoopEndL_7                      // exit LoopL


/* tail loop unroll iter 1 */


/* local read a */

_ds_load_b128 v[vgprValuA_X1_I0+0:vgprValuA_X1_I0+0+3], v[vgprLocalReadAddrA] offset:0 // L -> Reg lro=0 swapByteOffset=0 ti=32 vIdx=0 rIdx=0 oIdx=0 buffer=1 iui=0
_ds_load_b128 v[vgprValuA_X1_I0+4:vgprValuA_X1_I0+4+3], v[vgprLocalReadAddrA] offset:9216 // L -> Reg lro=0 swapByteOffset=0 ti=32 vIdx=1 rIdx=0 oIdx=0 buffer=1 iui=0
	;; [unrolled: 1-line block ×3, first 2 shown]


/* local read b */

_ds_load_b128 v[vgprValuB_X1_I0+0:vgprValuB_X1_I0+0+3], v[vgprLocalReadAddrB] offset:0 // L -> Reg lro=0 swapByteOffset=0 ti=32 vIdx=0 rIdx=0 oIdx=0 buffer=1 iui=0
_ds_load_b128 v[vgprValuB_X1_I0+4:vgprValuB_X1_I0+4+3], v[vgprLocalReadAddrB] offset:512 // L -> Reg lro=0 swapByteOffset=0 ti=32 vIdx=1 rIdx=0 oIdx=0 buffer=1 iui=0
	;; [unrolled: 1-line block ×4, first 2 shown]


/* local read inc a */

s_mov_b32 s62, 0x40                                // inc
_v_add_co_u32 v[vgprLocalReadAddrA], vcc, s62, v[vgprLocalReadAddrA] // lrA += 64 (LSU*bpe)


/* local read inc b */

s_mov_b32 s62, 0x2000                              // inc
_v_add_co_u32 v[vgprLocalReadAddrB], vcc, s62, v[vgprLocalReadAddrB] // lrB += 8192 (LSU*(MT+PAD)*bpe)

s_waitcnt lgkmcnt(0)                               // lgkmcnt=0 vmcnt=-14wait for local read



/* tail loop mfma iter 1: numReadsIterCoalescedA=1, numReadsIterCoalescedB=1 */
v_and_b32 v119, 63, v[vgprSerial]                  // v119 = v[vgprSerial] % 64
v_lshrrev_b32 v119, 4, v119                        // v119 = v119 / 16
                                                   // v119 = v119 * 1 (multiplier is 1, do nothing)
v_cmp_ge_i32 s[76:77], v119, s[sgprLoopCounterL]   // check K index >= Size L
v_cndmask_b32 v[vgprValuA_X1_I0+0+0+0+0], v[vgprValuA_X1_I0+0+0+0+0], 0x0, s[76:77] // set 0 if K_idx >= sizeL
v_cndmask_b32 v[vgprValuA_X1_I0+4+0+0+0], v[vgprValuA_X1_I0+4+0+0+0], 0x0, s[76:77] // set 0 if K_idx >= sizeL
	;; [unrolled: 1-line block ×12, first 2 shown]
s_nop 1
v_add_f64 v[120:121], -v[vgprValuA_X1_I0+0+0+0+2:vgprValuA_X1_I0+0+0+0+2+1], 0 // Ai=-Ai
v_mfma_f64_16x16x4_f64 a[0+0:7+0], v[vgprValuB_X1_I0+0+0+0:vgprValuB_X1_I0+0+0+0+1], v[vgprValuA_X1_I0+0+0+0:vgprValuA_X1_I0+0+0+0+1], a[0:7]
 // Cr += Ar*Br
v_mfma_f64_16x16x4_f64 a[96+0:103+0], v[vgprValuB_X1_I0+0+0+0:vgprValuB_X1_I0+0+0+0+1], v[vgprValuA_X1_I0+0+0+0+2:vgprValuA_X1_I0+0+0+0+2+1], a[96:103]
 // Ci += Ai*Br
v_mfma_f64_16x16x4_f64 a[0+0:7+0], v[vgprValuB_X1_I0+0+0+0+2:vgprValuB_X1_I0+0+0+0+2+1], v[120:121], a[0:7]
 // Cr += -Ai*Bi
v_mfma_f64_16x16x4_f64 a[96+0:103+0], v[vgprValuB_X1_I0+0+0+0+2:vgprValuB_X1_I0+0+0+0+2+1], v[vgprValuA_X1_I0+0+0+0:vgprValuA_X1_I0+0+0+0+1], a[96:103]
 // Ci += Ar*Bi
v_mfma_f64_16x16x4_f64 a[24+0:31+0], v[vgprValuB_X1_I0+4+0+0:vgprValuB_X1_I0+4+0+0+1], v[vgprValuA_X1_I0+0+0+0:vgprValuA_X1_I0+0+0+0+1], a[24:31]
 // Cr += Ar*Br
v_mfma_f64_16x16x4_f64 a[120+0:127+0], v[vgprValuB_X1_I0+4+0+0:vgprValuB_X1_I0+4+0+0+1], v[vgprValuA_X1_I0+0+0+0+2:vgprValuA_X1_I0+0+0+0+2+1], a[120:127]
 // Ci += Ai*Br
v_mfma_f64_16x16x4_f64 a[24+0:31+0], v[vgprValuB_X1_I0+4+0+0+2:vgprValuB_X1_I0+4+0+0+2+1], v[120:121], a[24:31]
 // Cr += -Ai*Bi
v_mfma_f64_16x16x4_f64 a[120+0:127+0], v[vgprValuB_X1_I0+4+0+0+2:vgprValuB_X1_I0+4+0+0+2+1], v[vgprValuA_X1_I0+0+0+0:vgprValuA_X1_I0+0+0+0+1], a[120:127]
 // Ci += Ar*Bi
v_mfma_f64_16x16x4_f64 a[48+0:55+0], v[vgprValuB_X1_I0+8+0+0:vgprValuB_X1_I0+8+0+0+1], v[vgprValuA_X1_I0+0+0+0:vgprValuA_X1_I0+0+0+0+1], a[48:55]
 // Cr += Ar*Br
v_mfma_f64_16x16x4_f64 a[144+0:151+0], v[vgprValuB_X1_I0+8+0+0:vgprValuB_X1_I0+8+0+0+1], v[vgprValuA_X1_I0+0+0+0+2:vgprValuA_X1_I0+0+0+0+2+1], a[144:151]
 // Ci += Ai*Br
v_mfma_f64_16x16x4_f64 a[48+0:55+0], v[vgprValuB_X1_I0+8+0+0+2:vgprValuB_X1_I0+8+0+0+2+1], v[120:121], a[48:55]
 // Cr += -Ai*Bi
v_mfma_f64_16x16x4_f64 a[144+0:151+0], v[vgprValuB_X1_I0+8+0+0+2:vgprValuB_X1_I0+8+0+0+2+1], v[vgprValuA_X1_I0+0+0+0:vgprValuA_X1_I0+0+0+0+1], a[144:151]
 // Ci += Ar*Bi
v_mfma_f64_16x16x4_f64 a[72+0:79+0], v[vgprValuB_X1_I0+12+0+0:vgprValuB_X1_I0+12+0+0+1], v[vgprValuA_X1_I0+0+0+0:vgprValuA_X1_I0+0+0+0+1], a[72:79]
 // Cr += Ar*Br
v_mfma_f64_16x16x4_f64 a[168+0:175+0], v[vgprValuB_X1_I0+12+0+0:vgprValuB_X1_I0+12+0+0+1], v[vgprValuA_X1_I0+0+0+0+2:vgprValuA_X1_I0+0+0+0+2+1], a[168:175]
 // Ci += Ai*Br
v_mfma_f64_16x16x4_f64 a[72+0:79+0], v[vgprValuB_X1_I0+12+0+0+2:vgprValuB_X1_I0+12+0+0+2+1], v[120:121], a[72:79]
 // Cr += -Ai*Bi
v_mfma_f64_16x16x4_f64 a[168+0:175+0], v[vgprValuB_X1_I0+12+0+0+2:vgprValuB_X1_I0+12+0+0+2+1], v[vgprValuA_X1_I0+0+0+0:vgprValuA_X1_I0+0+0+0+1], a[168:175]
 // Ci += Ar*Bi
v_add_f64 v[120:121], -v[vgprValuA_X1_I0+4+0+0+2:vgprValuA_X1_I0+4+0+0+2+1], 0 // Ai=-Ai
v_mfma_f64_16x16x4_f64 a[8+0:15+0], v[vgprValuB_X1_I0+0+0+0:vgprValuB_X1_I0+0+0+0+1], v[vgprValuA_X1_I0+4+0+0:vgprValuA_X1_I0+4+0+0+1], a[8:15]
 // Cr += Ar*Br
v_mfma_f64_16x16x4_f64 a[104+0:111+0], v[vgprValuB_X1_I0+0+0+0:vgprValuB_X1_I0+0+0+0+1], v[vgprValuA_X1_I0+4+0+0+2:vgprValuA_X1_I0+4+0+0+2+1], a[104:111]
 // Ci += Ai*Br
v_mfma_f64_16x16x4_f64 a[8+0:15+0], v[vgprValuB_X1_I0+0+0+0+2:vgprValuB_X1_I0+0+0+0+2+1], v[120:121], a[8:15]
 // Cr += -Ai*Bi
v_mfma_f64_16x16x4_f64 a[104+0:111+0], v[vgprValuB_X1_I0+0+0+0+2:vgprValuB_X1_I0+0+0+0+2+1], v[vgprValuA_X1_I0+4+0+0:vgprValuA_X1_I0+4+0+0+1], a[104:111]
 // Ci += Ar*Bi
v_mfma_f64_16x16x4_f64 a[32+0:39+0], v[vgprValuB_X1_I0+4+0+0:vgprValuB_X1_I0+4+0+0+1], v[vgprValuA_X1_I0+4+0+0:vgprValuA_X1_I0+4+0+0+1], a[32:39]
 // Cr += Ar*Br
v_mfma_f64_16x16x4_f64 a[128+0:135+0], v[vgprValuB_X1_I0+4+0+0:vgprValuB_X1_I0+4+0+0+1], v[vgprValuA_X1_I0+4+0+0+2:vgprValuA_X1_I0+4+0+0+2+1], a[128:135]
 // Ci += Ai*Br
v_mfma_f64_16x16x4_f64 a[32+0:39+0], v[vgprValuB_X1_I0+4+0+0+2:vgprValuB_X1_I0+4+0+0+2+1], v[120:121], a[32:39]
 // Cr += -Ai*Bi
v_mfma_f64_16x16x4_f64 a[128+0:135+0], v[vgprValuB_X1_I0+4+0+0+2:vgprValuB_X1_I0+4+0+0+2+1], v[vgprValuA_X1_I0+4+0+0:vgprValuA_X1_I0+4+0+0+1], a[128:135]
 // Ci += Ar*Bi
v_mfma_f64_16x16x4_f64 a[56+0:63+0], v[vgprValuB_X1_I0+8+0+0:vgprValuB_X1_I0+8+0+0+1], v[vgprValuA_X1_I0+4+0+0:vgprValuA_X1_I0+4+0+0+1], a[56:63]
 // Cr += Ar*Br
v_mfma_f64_16x16x4_f64 a[152+0:159+0], v[vgprValuB_X1_I0+8+0+0:vgprValuB_X1_I0+8+0+0+1], v[vgprValuA_X1_I0+4+0+0+2:vgprValuA_X1_I0+4+0+0+2+1], a[152:159]
 // Ci += Ai*Br
v_mfma_f64_16x16x4_f64 a[56+0:63+0], v[vgprValuB_X1_I0+8+0+0+2:vgprValuB_X1_I0+8+0+0+2+1], v[120:121], a[56:63]
 // Cr += -Ai*Bi
v_mfma_f64_16x16x4_f64 a[152+0:159+0], v[vgprValuB_X1_I0+8+0+0+2:vgprValuB_X1_I0+8+0+0+2+1], v[vgprValuA_X1_I0+4+0+0:vgprValuA_X1_I0+4+0+0+1], a[152:159]
 // Ci += Ar*Bi
v_mfma_f64_16x16x4_f64 a[80+0:87+0], v[vgprValuB_X1_I0+12+0+0:vgprValuB_X1_I0+12+0+0+1], v[vgprValuA_X1_I0+4+0+0:vgprValuA_X1_I0+4+0+0+1], a[80:87]
 // Cr += Ar*Br
v_mfma_f64_16x16x4_f64 a[176+0:183+0], v[vgprValuB_X1_I0+12+0+0:vgprValuB_X1_I0+12+0+0+1], v[vgprValuA_X1_I0+4+0+0+2:vgprValuA_X1_I0+4+0+0+2+1], a[176:183]
 // Ci += Ai*Br
v_mfma_f64_16x16x4_f64 a[80+0:87+0], v[vgprValuB_X1_I0+12+0+0+2:vgprValuB_X1_I0+12+0+0+2+1], v[120:121], a[80:87]
 // Cr += -Ai*Bi
v_mfma_f64_16x16x4_f64 a[176+0:183+0], v[vgprValuB_X1_I0+12+0+0+2:vgprValuB_X1_I0+12+0+0+2+1], v[vgprValuA_X1_I0+4+0+0:vgprValuA_X1_I0+4+0+0+1], a[176:183]
 // Ci += Ar*Bi
	;; [unrolled: 33-line block ×3, first 2 shown]


/* closeLoop loopL finalLoop=0 tailLoop=1 */
s_sub_i32 s[sgprLoopCounterL], s[sgprLoopCounterL], 0x4 // dec counterL (tailLoop)
s_add_u32 s[sgprOrigLoopCounter], s[sgprOrigLoopCounter], 0x4 // inc counterL
s_cmp_le_i32 s[sgprLoopCounterL], 0x0              // counterL<=0
s_cbranch_scc1 TailLoopEndL_7                      // exit LoopL


/* tail loop unroll iter 2 */


/* local read a */

_ds_load_b128 v[vgprValuA_X0_I0+0:vgprValuA_X0_I0+0+3], v[vgprLocalReadAddrA] offset:0 // L -> Reg lro=0 swapByteOffset=0 ti=32 vIdx=0 rIdx=0 oIdx=0 buffer=0 iui=0
_ds_load_b128 v[vgprValuA_X0_I0+4:vgprValuA_X0_I0+4+3], v[vgprLocalReadAddrA] offset:9216 // L -> Reg lro=0 swapByteOffset=0 ti=32 vIdx=1 rIdx=0 oIdx=0 buffer=0 iui=0
	;; [unrolled: 1-line block ×3, first 2 shown]


/* local read b */

_ds_load_b128 v[vgprValuB_X0_I0+0:vgprValuB_X0_I0+0+3], v[vgprLocalReadAddrB] offset:0 // L -> Reg lro=0 swapByteOffset=0 ti=32 vIdx=0 rIdx=0 oIdx=0 buffer=0 iui=0
_ds_load_b128 v[vgprValuB_X0_I0+4:vgprValuB_X0_I0+4+3], v[vgprLocalReadAddrB] offset:512 // L -> Reg lro=0 swapByteOffset=0 ti=32 vIdx=1 rIdx=0 oIdx=0 buffer=0 iui=0
	;; [unrolled: 1-line block ×4, first 2 shown]


/* local read inc a */

s_mov_b32 s62, 0x40                                // inc
_v_add_co_u32 v[vgprLocalReadAddrA], vcc, s62, v[vgprLocalReadAddrA] // lrA += 64 (LSU*bpe)


/* local read inc b */

s_mov_b32 s62, 0x2000                              // inc
_v_add_co_u32 v[vgprLocalReadAddrB], vcc, s62, v[vgprLocalReadAddrB] // lrB += 8192 (LSU*(MT+PAD)*bpe)

s_waitcnt lgkmcnt(0)                               // lgkmcnt=0 vmcnt=-14wait for local read


	;; [unrolled: 1-line block ×3, first 2 shown]
/* tail loop mfma iter 2: numReadsIterCoalescedA=1, numReadsIterCoalescedB=1 */
v_and_b32 v119, 63, v[vgprSerial]                  // v119 = v[vgprSerial] % 64
v_lshrrev_b32 v119, 4, v119                        // v119 = v119 / 16
                                                   // v119 = v119 * 1 (multiplier is 1, do nothing)
v_cmp_ge_i32 s[76:77], v119, s[sgprLoopCounterL]   // check K index >= Size L
v_cndmask_b32 v[vgprValuA_X0_I0+0+0+0+0], v[vgprValuA_X0_I0+0+0+0+0], 0x0, s[76:77] // set 0 if K_idx >= sizeL
v_cndmask_b32 v[vgprValuA_X0_I0+4+0+0+0], v[vgprValuA_X0_I0+4+0+0+0], 0x0, s[76:77] // set 0 if K_idx >= sizeL
	;; [unrolled: 1-line block ×12, first 2 shown]
s_nop 1
v_add_f64 v[120:121], -v[vgprValuA_X0_I0+0+0+0+2:vgprValuA_X0_I0+0+0+0+2+1], 0 // Ai=-Ai
v_mfma_f64_16x16x4_f64 a[0+0:7+0], v[vgprValuB_X0_I0+0+0+0:vgprValuB_X0_I0+0+0+0+1], v[vgprValuA_X0_I0+0+0+0:vgprValuA_X0_I0+0+0+0+1], a[0:7]
 // Cr += Ar*Br
v_mfma_f64_16x16x4_f64 a[96+0:103+0], v[vgprValuB_X0_I0+0+0+0:vgprValuB_X0_I0+0+0+0+1], v[vgprValuA_X0_I0+0+0+0+2:vgprValuA_X0_I0+0+0+0+2+1], a[96:103]
 // Ci += Ai*Br
v_mfma_f64_16x16x4_f64 a[0+0:7+0], v[vgprValuB_X0_I0+0+0+0+2:vgprValuB_X0_I0+0+0+0+2+1], v[120:121], a[0:7]
 // Cr += -Ai*Bi
v_mfma_f64_16x16x4_f64 a[96+0:103+0], v[vgprValuB_X0_I0+0+0+0+2:vgprValuB_X0_I0+0+0+0+2+1], v[vgprValuA_X0_I0+0+0+0:vgprValuA_X0_I0+0+0+0+1], a[96:103]
 // Ci += Ar*Bi
v_mfma_f64_16x16x4_f64 a[24+0:31+0], v[vgprValuB_X0_I0+4+0+0:vgprValuB_X0_I0+4+0+0+1], v[vgprValuA_X0_I0+0+0+0:vgprValuA_X0_I0+0+0+0+1], a[24:31]
 // Cr += Ar*Br
v_mfma_f64_16x16x4_f64 a[120+0:127+0], v[vgprValuB_X0_I0+4+0+0:vgprValuB_X0_I0+4+0+0+1], v[vgprValuA_X0_I0+0+0+0+2:vgprValuA_X0_I0+0+0+0+2+1], a[120:127]
 // Ci += Ai*Br
v_mfma_f64_16x16x4_f64 a[24+0:31+0], v[vgprValuB_X0_I0+4+0+0+2:vgprValuB_X0_I0+4+0+0+2+1], v[120:121], a[24:31]
 // Cr += -Ai*Bi
v_mfma_f64_16x16x4_f64 a[120+0:127+0], v[vgprValuB_X0_I0+4+0+0+2:vgprValuB_X0_I0+4+0+0+2+1], v[vgprValuA_X0_I0+0+0+0:vgprValuA_X0_I0+0+0+0+1], a[120:127]
 // Ci += Ar*Bi
v_mfma_f64_16x16x4_f64 a[48+0:55+0], v[vgprValuB_X0_I0+8+0+0:vgprValuB_X0_I0+8+0+0+1], v[vgprValuA_X0_I0+0+0+0:vgprValuA_X0_I0+0+0+0+1], a[48:55]
 // Cr += Ar*Br
v_mfma_f64_16x16x4_f64 a[144+0:151+0], v[vgprValuB_X0_I0+8+0+0:vgprValuB_X0_I0+8+0+0+1], v[vgprValuA_X0_I0+0+0+0+2:vgprValuA_X0_I0+0+0+0+2+1], a[144:151]
 // Ci += Ai*Br
v_mfma_f64_16x16x4_f64 a[48+0:55+0], v[vgprValuB_X0_I0+8+0+0+2:vgprValuB_X0_I0+8+0+0+2+1], v[120:121], a[48:55]
 // Cr += -Ai*Bi
v_mfma_f64_16x16x4_f64 a[144+0:151+0], v[vgprValuB_X0_I0+8+0+0+2:vgprValuB_X0_I0+8+0+0+2+1], v[vgprValuA_X0_I0+0+0+0:vgprValuA_X0_I0+0+0+0+1], a[144:151]
 // Ci += Ar*Bi
v_mfma_f64_16x16x4_f64 a[72+0:79+0], v[vgprValuB_X0_I0+12+0+0:vgprValuB_X0_I0+12+0+0+1], v[vgprValuA_X0_I0+0+0+0:vgprValuA_X0_I0+0+0+0+1], a[72:79]
 // Cr += Ar*Br
v_mfma_f64_16x16x4_f64 a[168+0:175+0], v[vgprValuB_X0_I0+12+0+0:vgprValuB_X0_I0+12+0+0+1], v[vgprValuA_X0_I0+0+0+0+2:vgprValuA_X0_I0+0+0+0+2+1], a[168:175]
 // Ci += Ai*Br
v_mfma_f64_16x16x4_f64 a[72+0:79+0], v[vgprValuB_X0_I0+12+0+0+2:vgprValuB_X0_I0+12+0+0+2+1], v[120:121], a[72:79]
 // Cr += -Ai*Bi
v_mfma_f64_16x16x4_f64 a[168+0:175+0], v[vgprValuB_X0_I0+12+0+0+2:vgprValuB_X0_I0+12+0+0+2+1], v[vgprValuA_X0_I0+0+0+0:vgprValuA_X0_I0+0+0+0+1], a[168:175]
 // Ci += Ar*Bi
v_add_f64 v[120:121], -v[vgprValuA_X0_I0+4+0+0+2:vgprValuA_X0_I0+4+0+0+2+1], 0 // Ai=-Ai
v_mfma_f64_16x16x4_f64 a[8+0:15+0], v[vgprValuB_X0_I0+0+0+0:vgprValuB_X0_I0+0+0+0+1], v[vgprValuA_X0_I0+4+0+0:vgprValuA_X0_I0+4+0+0+1], a[8:15]
 // Cr += Ar*Br
v_mfma_f64_16x16x4_f64 a[104+0:111+0], v[vgprValuB_X0_I0+0+0+0:vgprValuB_X0_I0+0+0+0+1], v[vgprValuA_X0_I0+4+0+0+2:vgprValuA_X0_I0+4+0+0+2+1], a[104:111]
 // Ci += Ai*Br
v_mfma_f64_16x16x4_f64 a[8+0:15+0], v[vgprValuB_X0_I0+0+0+0+2:vgprValuB_X0_I0+0+0+0+2+1], v[120:121], a[8:15]
 // Cr += -Ai*Bi
v_mfma_f64_16x16x4_f64 a[104+0:111+0], v[vgprValuB_X0_I0+0+0+0+2:vgprValuB_X0_I0+0+0+0+2+1], v[vgprValuA_X0_I0+4+0+0:vgprValuA_X0_I0+4+0+0+1], a[104:111]
 // Ci += Ar*Bi
v_mfma_f64_16x16x4_f64 a[32+0:39+0], v[vgprValuB_X0_I0+4+0+0:vgprValuB_X0_I0+4+0+0+1], v[vgprValuA_X0_I0+4+0+0:vgprValuA_X0_I0+4+0+0+1], a[32:39]
 // Cr += Ar*Br
v_mfma_f64_16x16x4_f64 a[128+0:135+0], v[vgprValuB_X0_I0+4+0+0:vgprValuB_X0_I0+4+0+0+1], v[vgprValuA_X0_I0+4+0+0+2:vgprValuA_X0_I0+4+0+0+2+1], a[128:135]
 // Ci += Ai*Br
v_mfma_f64_16x16x4_f64 a[32+0:39+0], v[vgprValuB_X0_I0+4+0+0+2:vgprValuB_X0_I0+4+0+0+2+1], v[120:121], a[32:39]
 // Cr += -Ai*Bi
v_mfma_f64_16x16x4_f64 a[128+0:135+0], v[vgprValuB_X0_I0+4+0+0+2:vgprValuB_X0_I0+4+0+0+2+1], v[vgprValuA_X0_I0+4+0+0:vgprValuA_X0_I0+4+0+0+1], a[128:135]
 // Ci += Ar*Bi
v_mfma_f64_16x16x4_f64 a[56+0:63+0], v[vgprValuB_X0_I0+8+0+0:vgprValuB_X0_I0+8+0+0+1], v[vgprValuA_X0_I0+4+0+0:vgprValuA_X0_I0+4+0+0+1], a[56:63]
 // Cr += Ar*Br
v_mfma_f64_16x16x4_f64 a[152+0:159+0], v[vgprValuB_X0_I0+8+0+0:vgprValuB_X0_I0+8+0+0+1], v[vgprValuA_X0_I0+4+0+0+2:vgprValuA_X0_I0+4+0+0+2+1], a[152:159]
 // Ci += Ai*Br
v_mfma_f64_16x16x4_f64 a[56+0:63+0], v[vgprValuB_X0_I0+8+0+0+2:vgprValuB_X0_I0+8+0+0+2+1], v[120:121], a[56:63]
 // Cr += -Ai*Bi
v_mfma_f64_16x16x4_f64 a[152+0:159+0], v[vgprValuB_X0_I0+8+0+0+2:vgprValuB_X0_I0+8+0+0+2+1], v[vgprValuA_X0_I0+4+0+0:vgprValuA_X0_I0+4+0+0+1], a[152:159]
 // Ci += Ar*Bi
v_mfma_f64_16x16x4_f64 a[80+0:87+0], v[vgprValuB_X0_I0+12+0+0:vgprValuB_X0_I0+12+0+0+1], v[vgprValuA_X0_I0+4+0+0:vgprValuA_X0_I0+4+0+0+1], a[80:87]
 // Cr += Ar*Br
v_mfma_f64_16x16x4_f64 a[176+0:183+0], v[vgprValuB_X0_I0+12+0+0:vgprValuB_X0_I0+12+0+0+1], v[vgprValuA_X0_I0+4+0+0+2:vgprValuA_X0_I0+4+0+0+2+1], a[176:183]
 // Ci += Ai*Br
v_mfma_f64_16x16x4_f64 a[80+0:87+0], v[vgprValuB_X0_I0+12+0+0+2:vgprValuB_X0_I0+12+0+0+2+1], v[120:121], a[80:87]
 // Cr += -Ai*Bi
v_mfma_f64_16x16x4_f64 a[176+0:183+0], v[vgprValuB_X0_I0+12+0+0+2:vgprValuB_X0_I0+12+0+0+2+1], v[vgprValuA_X0_I0+4+0+0:vgprValuA_X0_I0+4+0+0+1], a[176:183]
 // Ci += Ar*Bi
	;; [unrolled: 33-line block ×3, first 2 shown]


/* closeLoop loopL finalLoop=0 tailLoop=1 */
s_sub_i32 s[sgprLoopCounterL], s[sgprLoopCounterL], 0x4 // dec counterL (tailLoop)
s_add_u32 s[sgprOrigLoopCounter], s[sgprOrigLoopCounter], 0x4 // inc counterL
s_cmp_le_i32 s[sgprLoopCounterL], 0x0              // counterL<=0
s_cbranch_scc1 TailLoopEndL_7                      // exit LoopL


/* tail loop unroll iter 3 */


/* local read a */

_ds_load_b128 v[vgprValuA_X1_I0+0:vgprValuA_X1_I0+0+3], v[vgprLocalReadAddrA] offset:0 // L -> Reg lro=0 swapByteOffset=0 ti=32 vIdx=0 rIdx=0 oIdx=0 buffer=1 iui=0
_ds_load_b128 v[vgprValuA_X1_I0+4:vgprValuA_X1_I0+4+3], v[vgprLocalReadAddrA] offset:9216 // L -> Reg lro=0 swapByteOffset=0 ti=32 vIdx=1 rIdx=0 oIdx=0 buffer=1 iui=0
	;; [unrolled: 1-line block ×3, first 2 shown]


/* local read b */

_ds_load_b128 v[vgprValuB_X1_I0+0:vgprValuB_X1_I0+0+3], v[vgprLocalReadAddrB] offset:0 // L -> Reg lro=0 swapByteOffset=0 ti=32 vIdx=0 rIdx=0 oIdx=0 buffer=1 iui=0
_ds_load_b128 v[vgprValuB_X1_I0+4:vgprValuB_X1_I0+4+3], v[vgprLocalReadAddrB] offset:512 // L -> Reg lro=0 swapByteOffset=0 ti=32 vIdx=1 rIdx=0 oIdx=0 buffer=1 iui=0
	;; [unrolled: 1-line block ×4, first 2 shown]


/* local read inc a */

s_mov_b32 s62, 0x60                                // inc
_v_add_co_u32 v[vgprLocalReadAddrA], vcc, s62, v[vgprLocalReadAddrA] // lrA += 96 (LSU*bpe)


/* local read inc b */

s_mov_b32 s62, 0x2000                              // inc
_v_add_co_u32 v[vgprLocalReadAddrB], vcc, s62, v[vgprLocalReadAddrB] // lrB += 8192 (LSU*(MT+PAD)*bpe)

s_waitcnt lgkmcnt(0)                               // lgkmcnt=0 vmcnt=-14wait for local read


	;; [unrolled: 1-line block ×3, first 2 shown]
/* tail loop mfma iter 3: numReadsIterCoalescedA=1, numReadsIterCoalescedB=1 */
v_and_b32 v119, 63, v[vgprSerial]                  // v119 = v[vgprSerial] % 64
v_lshrrev_b32 v119, 4, v119                        // v119 = v119 / 16
                                                   // v119 = v119 * 1 (multiplier is 1, do nothing)
v_cmp_ge_i32 s[76:77], v119, s[sgprLoopCounterL]   // check K index >= Size L
v_cndmask_b32 v[vgprValuA_X1_I0+0+0+0+0], v[vgprValuA_X1_I0+0+0+0+0], 0x0, s[76:77] // set 0 if K_idx >= sizeL
v_cndmask_b32 v[vgprValuA_X1_I0+4+0+0+0], v[vgprValuA_X1_I0+4+0+0+0], 0x0, s[76:77] // set 0 if K_idx >= sizeL
	;; [unrolled: 1-line block ×12, first 2 shown]
s_nop 1
v_add_f64 v[120:121], -v[vgprValuA_X1_I0+0+0+0+2:vgprValuA_X1_I0+0+0+0+2+1], 0 // Ai=-Ai
v_mfma_f64_16x16x4_f64 a[0+0:7+0], v[vgprValuB_X1_I0+0+0+0:vgprValuB_X1_I0+0+0+0+1], v[vgprValuA_X1_I0+0+0+0:vgprValuA_X1_I0+0+0+0+1], a[0:7]
 // Cr += Ar*Br
v_mfma_f64_16x16x4_f64 a[96+0:103+0], v[vgprValuB_X1_I0+0+0+0:vgprValuB_X1_I0+0+0+0+1], v[vgprValuA_X1_I0+0+0+0+2:vgprValuA_X1_I0+0+0+0+2+1], a[96:103]
 // Ci += Ai*Br
v_mfma_f64_16x16x4_f64 a[0+0:7+0], v[vgprValuB_X1_I0+0+0+0+2:vgprValuB_X1_I0+0+0+0+2+1], v[120:121], a[0:7]
 // Cr += -Ai*Bi
v_mfma_f64_16x16x4_f64 a[96+0:103+0], v[vgprValuB_X1_I0+0+0+0+2:vgprValuB_X1_I0+0+0+0+2+1], v[vgprValuA_X1_I0+0+0+0:vgprValuA_X1_I0+0+0+0+1], a[96:103]
 // Ci += Ar*Bi
v_mfma_f64_16x16x4_f64 a[24+0:31+0], v[vgprValuB_X1_I0+4+0+0:vgprValuB_X1_I0+4+0+0+1], v[vgprValuA_X1_I0+0+0+0:vgprValuA_X1_I0+0+0+0+1], a[24:31]
 // Cr += Ar*Br
v_mfma_f64_16x16x4_f64 a[120+0:127+0], v[vgprValuB_X1_I0+4+0+0:vgprValuB_X1_I0+4+0+0+1], v[vgprValuA_X1_I0+0+0+0+2:vgprValuA_X1_I0+0+0+0+2+1], a[120:127]
 // Ci += Ai*Br
v_mfma_f64_16x16x4_f64 a[24+0:31+0], v[vgprValuB_X1_I0+4+0+0+2:vgprValuB_X1_I0+4+0+0+2+1], v[120:121], a[24:31]
 // Cr += -Ai*Bi
v_mfma_f64_16x16x4_f64 a[120+0:127+0], v[vgprValuB_X1_I0+4+0+0+2:vgprValuB_X1_I0+4+0+0+2+1], v[vgprValuA_X1_I0+0+0+0:vgprValuA_X1_I0+0+0+0+1], a[120:127]
 // Ci += Ar*Bi
v_mfma_f64_16x16x4_f64 a[48+0:55+0], v[vgprValuB_X1_I0+8+0+0:vgprValuB_X1_I0+8+0+0+1], v[vgprValuA_X1_I0+0+0+0:vgprValuA_X1_I0+0+0+0+1], a[48:55]
 // Cr += Ar*Br
v_mfma_f64_16x16x4_f64 a[144+0:151+0], v[vgprValuB_X1_I0+8+0+0:vgprValuB_X1_I0+8+0+0+1], v[vgprValuA_X1_I0+0+0+0+2:vgprValuA_X1_I0+0+0+0+2+1], a[144:151]
 // Ci += Ai*Br
v_mfma_f64_16x16x4_f64 a[48+0:55+0], v[vgprValuB_X1_I0+8+0+0+2:vgprValuB_X1_I0+8+0+0+2+1], v[120:121], a[48:55]
 // Cr += -Ai*Bi
v_mfma_f64_16x16x4_f64 a[144+0:151+0], v[vgprValuB_X1_I0+8+0+0+2:vgprValuB_X1_I0+8+0+0+2+1], v[vgprValuA_X1_I0+0+0+0:vgprValuA_X1_I0+0+0+0+1], a[144:151]
 // Ci += Ar*Bi
v_mfma_f64_16x16x4_f64 a[72+0:79+0], v[vgprValuB_X1_I0+12+0+0:vgprValuB_X1_I0+12+0+0+1], v[vgprValuA_X1_I0+0+0+0:vgprValuA_X1_I0+0+0+0+1], a[72:79]
 // Cr += Ar*Br
v_mfma_f64_16x16x4_f64 a[168+0:175+0], v[vgprValuB_X1_I0+12+0+0:vgprValuB_X1_I0+12+0+0+1], v[vgprValuA_X1_I0+0+0+0+2:vgprValuA_X1_I0+0+0+0+2+1], a[168:175]
 // Ci += Ai*Br
v_mfma_f64_16x16x4_f64 a[72+0:79+0], v[vgprValuB_X1_I0+12+0+0+2:vgprValuB_X1_I0+12+0+0+2+1], v[120:121], a[72:79]
 // Cr += -Ai*Bi
v_mfma_f64_16x16x4_f64 a[168+0:175+0], v[vgprValuB_X1_I0+12+0+0+2:vgprValuB_X1_I0+12+0+0+2+1], v[vgprValuA_X1_I0+0+0+0:vgprValuA_X1_I0+0+0+0+1], a[168:175]
 // Ci += Ar*Bi
v_add_f64 v[120:121], -v[vgprValuA_X1_I0+4+0+0+2:vgprValuA_X1_I0+4+0+0+2+1], 0 // Ai=-Ai
v_mfma_f64_16x16x4_f64 a[8+0:15+0], v[vgprValuB_X1_I0+0+0+0:vgprValuB_X1_I0+0+0+0+1], v[vgprValuA_X1_I0+4+0+0:vgprValuA_X1_I0+4+0+0+1], a[8:15]
 // Cr += Ar*Br
v_mfma_f64_16x16x4_f64 a[104+0:111+0], v[vgprValuB_X1_I0+0+0+0:vgprValuB_X1_I0+0+0+0+1], v[vgprValuA_X1_I0+4+0+0+2:vgprValuA_X1_I0+4+0+0+2+1], a[104:111]
 // Ci += Ai*Br
v_mfma_f64_16x16x4_f64 a[8+0:15+0], v[vgprValuB_X1_I0+0+0+0+2:vgprValuB_X1_I0+0+0+0+2+1], v[120:121], a[8:15]
 // Cr += -Ai*Bi
v_mfma_f64_16x16x4_f64 a[104+0:111+0], v[vgprValuB_X1_I0+0+0+0+2:vgprValuB_X1_I0+0+0+0+2+1], v[vgprValuA_X1_I0+4+0+0:vgprValuA_X1_I0+4+0+0+1], a[104:111]
 // Ci += Ar*Bi
v_mfma_f64_16x16x4_f64 a[32+0:39+0], v[vgprValuB_X1_I0+4+0+0:vgprValuB_X1_I0+4+0+0+1], v[vgprValuA_X1_I0+4+0+0:vgprValuA_X1_I0+4+0+0+1], a[32:39]
 // Cr += Ar*Br
v_mfma_f64_16x16x4_f64 a[128+0:135+0], v[vgprValuB_X1_I0+4+0+0:vgprValuB_X1_I0+4+0+0+1], v[vgprValuA_X1_I0+4+0+0+2:vgprValuA_X1_I0+4+0+0+2+1], a[128:135]
 // Ci += Ai*Br
v_mfma_f64_16x16x4_f64 a[32+0:39+0], v[vgprValuB_X1_I0+4+0+0+2:vgprValuB_X1_I0+4+0+0+2+1], v[120:121], a[32:39]
 // Cr += -Ai*Bi
v_mfma_f64_16x16x4_f64 a[128+0:135+0], v[vgprValuB_X1_I0+4+0+0+2:vgprValuB_X1_I0+4+0+0+2+1], v[vgprValuA_X1_I0+4+0+0:vgprValuA_X1_I0+4+0+0+1], a[128:135]
 // Ci += Ar*Bi
v_mfma_f64_16x16x4_f64 a[56+0:63+0], v[vgprValuB_X1_I0+8+0+0:vgprValuB_X1_I0+8+0+0+1], v[vgprValuA_X1_I0+4+0+0:vgprValuA_X1_I0+4+0+0+1], a[56:63]
 // Cr += Ar*Br
v_mfma_f64_16x16x4_f64 a[152+0:159+0], v[vgprValuB_X1_I0+8+0+0:vgprValuB_X1_I0+8+0+0+1], v[vgprValuA_X1_I0+4+0+0+2:vgprValuA_X1_I0+4+0+0+2+1], a[152:159]
 // Ci += Ai*Br
v_mfma_f64_16x16x4_f64 a[56+0:63+0], v[vgprValuB_X1_I0+8+0+0+2:vgprValuB_X1_I0+8+0+0+2+1], v[120:121], a[56:63]
 // Cr += -Ai*Bi
v_mfma_f64_16x16x4_f64 a[152+0:159+0], v[vgprValuB_X1_I0+8+0+0+2:vgprValuB_X1_I0+8+0+0+2+1], v[vgprValuA_X1_I0+4+0+0:vgprValuA_X1_I0+4+0+0+1], a[152:159]
 // Ci += Ar*Bi
v_mfma_f64_16x16x4_f64 a[80+0:87+0], v[vgprValuB_X1_I0+12+0+0:vgprValuB_X1_I0+12+0+0+1], v[vgprValuA_X1_I0+4+0+0:vgprValuA_X1_I0+4+0+0+1], a[80:87]
 // Cr += Ar*Br
v_mfma_f64_16x16x4_f64 a[176+0:183+0], v[vgprValuB_X1_I0+12+0+0:vgprValuB_X1_I0+12+0+0+1], v[vgprValuA_X1_I0+4+0+0+2:vgprValuA_X1_I0+4+0+0+2+1], a[176:183]
 // Ci += Ai*Br
v_mfma_f64_16x16x4_f64 a[80+0:87+0], v[vgprValuB_X1_I0+12+0+0+2:vgprValuB_X1_I0+12+0+0+2+1], v[120:121], a[80:87]
 // Cr += -Ai*Bi
v_mfma_f64_16x16x4_f64 a[176+0:183+0], v[vgprValuB_X1_I0+12+0+0+2:vgprValuB_X1_I0+12+0+0+2+1], v[vgprValuA_X1_I0+4+0+0:vgprValuA_X1_I0+4+0+0+1], a[176:183]
 // Ci += Ar*Bi
	;; [unrolled: 33-line block ×3, first 2 shown]


/* closeLoop loopL finalLoop=1 tailLoop=1 */
s_sub_i32 s[sgprLoopCounterL], s[sgprLoopCounterL], 0x4 // dec counterL (tailLoop)
s_add_u32 s[sgprOrigLoopCounter], s[sgprOrigLoopCounter], 0x4 // inc counterL
s_cmp_le_i32 s[sgprLoopCounterL], 0x0              // counterL<=0
s_cbranch_scc0 TailLoopBeginL_6                    // restart LoopL
TailLoopEndL_7:

SkipTailLoopL_8:

Summation_End_30:
s_setprio 0                                        // optimization store
/* endSummation: add vgpr [0...116) to pool */
.set NumFullBlocks, UNDEF
.set WgmRemainder1, UNDEF
.set MagicNumberWgmRemainder1, UNDEF
.set ScalarGlobalReadOffsetA, UNDEF
.set ScalarGlobalReadOffsetB, UNDEF

/* Mapping of Acc register -> C Vgpr register */


	;; [unrolled: 1-line block ×3, first 2 shown]
/* not-LocalSplitU: global write indices */

/* computeStoreVgprs */
v_lshrrev_b32 v4, 6, v[vgprSerial]                 // v4 = v[vgprSerial] / 64
v_and_b32 v1, 63, v[vgprSerial]                    // v1 = v[vgprSerial] % 64
v_lshrrev_b32 v1, 4, v1                            // v1 = v1 / 16
                                                   // thread0 * continuous_output (multiplier is 1, do nothing)
v_lshrrev_b32 v5, 1, v4                            // v5 = v4 / 2
v_mul_lo_u32 v5, 0x10, v5                          // wave coordination offset 1
_v_add_lshl_u32 v1, v5, v1, 0                      // coordination 1 = vwb *(wave_id1 + tid1)
v_mul_lo_u32 v2, v1, s[sgprStrideC1J]              //  offset 1
v_mul_lo_u32 v3, v1, s[sgprStrideD1J]              //  offset 1
v_and_b32 v5, 1, v4                                // v5 = v4 % 2
v_mul_lo_u32 v5, 0x10, v5                          // wave coordination offset 0
v_and_b32 v0, 15, v[vgprSerial]                    // v0 = v[vgprSerial] % 16
_v_add_lshl_u32 v0, v5, v0, 0                      // coordination 0 = vwa *(wave_id0 + tid0)
s_mul_i32 s59, 96, s[sgprWorkGroup0]               // wgp0 * MT0
_v_add_u32 v0, s59, v0                             // coord 0 = (tid0/MI_m)*4 + waveG0*MIB_m + MT0*SG0
s_mul_i32 s59, 128, s[sgprWorkGroup1]              // wgp1 * MT1
_v_add_u32 v1, s59, v1                             // coord 1 = (tid0%MI_m) + waveG1*MIB_n + MT1*SG1


/* not-LocalSplitU: global write */

s_mov_b32 s59, s[sgprBeta+0]                       // tmp = Beta[0]
s_or_b32 s59, s[sgprBeta+1], s59                   // tmp |= Beta[1] 
s_or_b32 s59, s[sgprBeta+2], s59                   // tmp |= Beta[2] 
	;; [unrolled: 1-line block ×3, first 2 shown]
s_cmpk_eq_u32 s59, 0x0                             // Beta == 0
s_cbranch_scc0 GW_Beta_45                          // Branch if Beta is not zero

s_mov_b32 s63, 0x0                                 // STATIC_DIV: divisior=96
s_mul_i32 s62, 0x555, s[sgprSizeI]                 // tmp1 = dividend * magic hi
s_lshl_b64 s[62:63], s[62:63], 0x10                // left shift 16 bits
s_mul_i32 s61, s[sgprSizeI], 0x5556                // tmp0 = dividend * magic lo
s_add_u32 s62, s61, s62                            // add lo
s_addc_u32 s63, s63, 0x0                           // add hi
s_lshr_b64 s[62:63], s[62:63], 0x21                // tmp1 = (dividend * magic) << shift
s_mov_b32 s61, s62                                 // quotient
s_mul_i32 s62, s61, 0x60                           // quotient*divisor
s_sub_u32 s60, s[sgprSizeI], s62                   // rReg = dividend - quotient*divisor
s_add_u32 s61, -0x1, s[sgprNumWorkGroups0]         // 
s_cmp_ge_u32 s[sgprWorkGroup0], s61                // wg0 >= nwg0-1 ?
s_cselect_b32 s60, s60, 0                          // set rMT0
s_cmpk_gt_u32 s60, 0x0                             // rMT0 > 0
s_cbranch_scc1 GW_B0_E1_36                         // jump if edges required
s_and_b32 s60, 127, s[sgprSizeJ]                   // s60 = s[sgprSizeJ] % 128
s_add_u32 s61, -0x1, s[sgprNumWorkGroups1]         // 
s_cmp_ge_u32 s[sgprWorkGroup1], s61                // wg1 >= nwg1-1
s_cselect_b32 s60, s60, 0                          // set rMT1
s_cmpk_gt_u32 s60, 0x0                             // rMT1 > 0
s_cbranch_scc1 GW_B0_E1_36                         // jump if edges required
GW_B0_E0_33:

/* edge=0, allocate 2 sgpr. perBatchTmpS=2 perBatchMaskS=0 perElementMaskS=0 elementsPerBatch=2 */
/* optSingleColVgpr=1 optSharedColVgpr=0 optSGPRUsage=BufferLoad_Mask optSrdIncForRow=1 */
s_sleep 3 // optimization: sync and wait
s_barrier

/******************************************/
/* Global Write Alpha Batch #0 (d1,d0,vc1,vc0) = */
/*    (0,0,0,0:vw1); (0,1,0,0:vw1)        */
/******************************************/

/* calc coords, apply mask, and issue loads (if necessary) */
/* (d1,vc1,d0,vc0)=(0,0,0,0) */
/* (d1,vc1,d0,vc0)=(0,0,1,0) */
_v_add_lshl_u32 v6, v3, v0, 0x4                    // optSingleColVgpr scaleToBpe: sharedAddrVgpr <- cinRowPtr + coord0, scaled by BPE. BSHERE:coord0=0, coord0Vgpr=0
v_accvgpr_read_b32 v[vgprValuC+8], acc0 // copy acc to vreg[0]
v_accvgpr_read_b32 v[vgprValuC+9], acc1 // copy acc to vreg[1]
v_accvgpr_read_b32 v[vgprValuC+10], acc96 // copy acc to vreg[2]
v_accvgpr_read_b32 v[vgprValuC+11], acc97 // copy acc to vreg[3]
v_accvgpr_read_b32 v[vgprValuC+12], acc8 // copy acc to vreg[4]
v_accvgpr_read_b32 v[vgprValuC+13], acc9 // copy acc to vreg[5]
v_accvgpr_read_b32 v[vgprValuC+14], acc104 // copy acc to vreg[6]
v_accvgpr_read_b32 v[vgprValuC+15], acc105 // copy acc to vreg[7]
s_nop 1                                            // 2 wait states required before reading vgpr

/* rC *= alpha batchElements=[(0, 0, 0, 0), (0, 1, 0, 0)] */
v_mul_f64 v[16:17], s[sgprAlpha+0:sgprAlpha+0+1], v[vgprValuC+8:vgprValuC+8+1] // 
v_mul_f64 v[18:19], s[sgprAlpha+2:sgprAlpha+2+1], v[vgprValuC+8:vgprValuC+8+1] // 
v_fma_f64 v[vgprValuC+8:vgprValuC+8+1], s[sgprAlpha+2:sgprAlpha+2+1], -v[vgprValuC+10:vgprValuC+10+1], v[16:17]
v_fma_f64 v[vgprValuC+10:vgprValuC+10+1], s[sgprAlpha+0:sgprAlpha+0+1], v[vgprValuC+10:vgprValuC+10+1], v[18:19]
v_mul_f64 v[16:17], s[sgprAlpha+0:sgprAlpha+0+1], v[vgprValuC+12:vgprValuC+12+1] // 
v_mul_f64 v[18:19], s[sgprAlpha+2:sgprAlpha+2+1], v[vgprValuC+12:vgprValuC+12+1] // 
v_fma_f64 v[vgprValuC+12:vgprValuC+12+1], s[sgprAlpha+2:sgprAlpha+2+1], -v[vgprValuC+14:vgprValuC+14+1], v[16:17]
v_fma_f64 v[vgprValuC+14:vgprValuC+14+1], s[sgprAlpha+0:sgprAlpha+0+1], v[vgprValuC+14:vgprValuC+14+1], v[18:19]

/* apply mask, calc new C and issue writes */
_buffer_store_b128 v[8:11], v6, s[sgprSrdD:sgprSrdD+3], 0, offen, offset:0,  nt // store D
_buffer_store_b128 v[12:15], v6, s[sgprSrdD:sgprSrdD+3], 0, offen, offset:512,  nt // store D
s_nop 0                                            // 1 wait state required when next inst writes vgprs held by previous dwordx4 store inst
/* optSingleColVgpr=1 optSharedColVgpr=0 optSGPRUsage=BufferLoad_Mask optSrdIncForRow=1 */
s_sleep 3 // optimization: sync and wait
s_barrier

/******************************************/
/* Global Write Alpha Batch #1 (d1,d0,vc1,vc0) = */
/*    (0,2,0,0:vw1); (1,0,0,0:vw1)        */
/******************************************/

/* calc coords, apply mask, and issue loads (if necessary) */
/* (d1,vc1,d0,vc0)=(0,0,2,0) */
/* (d1,vc1,d0,vc0)=(1,0,0,0) */
v_accvgpr_read_b32 v[vgprValuC+8], acc16 // copy acc to vreg[8]
v_accvgpr_read_b32 v[vgprValuC+9], acc17 // copy acc to vreg[9]
v_accvgpr_read_b32 v[vgprValuC+10], acc112 // copy acc to vreg[10]
v_accvgpr_read_b32 v[vgprValuC+11], acc113 // copy acc to vreg[11]
v_accvgpr_read_b32 v[vgprValuC+12], acc2 // copy acc to vreg[12]
v_accvgpr_read_b32 v[vgprValuC+13], acc3 // copy acc to vreg[13]
v_accvgpr_read_b32 v[vgprValuC+14], acc98 // copy acc to vreg[14]
v_accvgpr_read_b32 v[vgprValuC+15], acc99 // copy acc to vreg[15]
s_nop 1                                            // 2 wait states required before reading vgpr

/* rC *= alpha batchElements=[(0, 2, 0, 0), (1, 0, 0, 0)] */
v_mul_f64 v[16:17], s[sgprAlpha+0:sgprAlpha+0+1], v[vgprValuC+8:vgprValuC+8+1] // 
v_mul_f64 v[18:19], s[sgprAlpha+2:sgprAlpha+2+1], v[vgprValuC+8:vgprValuC+8+1] // 
v_fma_f64 v[vgprValuC+8:vgprValuC+8+1], s[sgprAlpha+2:sgprAlpha+2+1], -v[vgprValuC+10:vgprValuC+10+1], v[16:17]
v_fma_f64 v[vgprValuC+10:vgprValuC+10+1], s[sgprAlpha+0:sgprAlpha+0+1], v[vgprValuC+10:vgprValuC+10+1], v[18:19]
v_mul_f64 v[16:17], s[sgprAlpha+0:sgprAlpha+0+1], v[vgprValuC+12:vgprValuC+12+1] // 
v_mul_f64 v[18:19], s[sgprAlpha+2:sgprAlpha+2+1], v[vgprValuC+12:vgprValuC+12+1] // 
v_fma_f64 v[vgprValuC+12:vgprValuC+12+1], s[sgprAlpha+2:sgprAlpha+2+1], -v[vgprValuC+14:vgprValuC+14+1], v[16:17]
v_fma_f64 v[vgprValuC+14:vgprValuC+14+1], s[sgprAlpha+0:sgprAlpha+0+1], v[vgprValuC+14:vgprValuC+14+1], v[18:19]

/* apply mask, calc new C and issue writes */
_buffer_store_b128 v[8:11], v6, s[sgprSrdD:sgprSrdD+3], 0, offen, offset:1024,  nt // store D
s_mul_i32 s60, s[sgprStrideD1J], 64                // scale StrideD *= numRows(4) * bpe
s_add_u32  s[sgprSrdD+0], s[sgprSrdD+0], s60       // incToNextRow: gra SRD += inc(lower)
s_addc_u32  s[sgprSrdD+1], s[sgprSrdD+1], 0        // incToNextRow: gra SRD += inc(upper)
_buffer_store_b128 v[12:15], v6, s[sgprSrdD:sgprSrdD+3], 0, offen, offset:0,  nt // store D
s_nop 0                                            // 1 wait state required when next inst writes vgprs held by previous dwordx4 store inst
/* optSingleColVgpr=1 optSharedColVgpr=0 optSGPRUsage=BufferLoad_Mask optSrdIncForRow=1 */
s_sleep 3 // optimization: sync and wait
s_barrier

/******************************************/
/* Global Write Alpha Batch #2 (d1,d0,vc1,vc0) = */
/*    (1,1,0,0:vw1); (1,2,0,0:vw1)        */
/******************************************/

/* calc coords, apply mask, and issue loads (if necessary) */
/* (d1,vc1,d0,vc0)=(1,0,1,0) */
/* (d1,vc1,d0,vc0)=(1,0,2,0) */
v_accvgpr_read_b32 v[vgprValuC+8], acc10 // copy acc to vreg[16]
v_accvgpr_read_b32 v[vgprValuC+9], acc11 // copy acc to vreg[17]
v_accvgpr_read_b32 v[vgprValuC+10], acc106 // copy acc to vreg[18]
v_accvgpr_read_b32 v[vgprValuC+11], acc107 // copy acc to vreg[19]
v_accvgpr_read_b32 v[vgprValuC+12], acc18 // copy acc to vreg[20]
v_accvgpr_read_b32 v[vgprValuC+13], acc19 // copy acc to vreg[21]
v_accvgpr_read_b32 v[vgprValuC+14], acc114 // copy acc to vreg[22]
v_accvgpr_read_b32 v[vgprValuC+15], acc115 // copy acc to vreg[23]
s_nop 1                                            // 2 wait states required before reading vgpr

/* rC *= alpha batchElements=[(1, 1, 0, 0), (1, 2, 0, 0)] */
v_mul_f64 v[16:17], s[sgprAlpha+0:sgprAlpha+0+1], v[vgprValuC+8:vgprValuC+8+1] // 
v_mul_f64 v[18:19], s[sgprAlpha+2:sgprAlpha+2+1], v[vgprValuC+8:vgprValuC+8+1] // 
v_fma_f64 v[vgprValuC+8:vgprValuC+8+1], s[sgprAlpha+2:sgprAlpha+2+1], -v[vgprValuC+10:vgprValuC+10+1], v[16:17]
v_fma_f64 v[vgprValuC+10:vgprValuC+10+1], s[sgprAlpha+0:sgprAlpha+0+1], v[vgprValuC+10:vgprValuC+10+1], v[18:19]
v_mul_f64 v[16:17], s[sgprAlpha+0:sgprAlpha+0+1], v[vgprValuC+12:vgprValuC+12+1] // 
v_mul_f64 v[18:19], s[sgprAlpha+2:sgprAlpha+2+1], v[vgprValuC+12:vgprValuC+12+1] // 
v_fma_f64 v[vgprValuC+12:vgprValuC+12+1], s[sgprAlpha+2:sgprAlpha+2+1], -v[vgprValuC+14:vgprValuC+14+1], v[16:17]
v_fma_f64 v[vgprValuC+14:vgprValuC+14+1], s[sgprAlpha+0:sgprAlpha+0+1], v[vgprValuC+14:vgprValuC+14+1], v[18:19]

/* apply mask, calc new C and issue writes */
_buffer_store_b128 v[8:11], v6, s[sgprSrdD:sgprSrdD+3], 0, offen, offset:512,  nt // store D
_buffer_store_b128 v[12:15], v6, s[sgprSrdD:sgprSrdD+3], 0, offen, offset:1024,  nt // store D
s_nop 0                                            // 1 wait state required when next inst writes vgprs held by previous dwordx4 store inst
/* optSingleColVgpr=1 optSharedColVgpr=0 optSGPRUsage=BufferLoad_Mask optSrdIncForRow=1 */
s_sleep 3 // optimization: sync and wait
s_barrier

/******************************************/
/* Global Write Alpha Batch #3 (d1,d0,vc1,vc0) = */
/*    (2,0,0,0:vw1); (2,1,0,0:vw1)        */
/******************************************/

/* calc coords, apply mask, and issue loads (if necessary) */
/* (d1,vc1,d0,vc0)=(2,0,0,0) */
/* (d1,vc1,d0,vc0)=(2,0,1,0) */
v_accvgpr_read_b32 v[vgprValuC+8], acc4 // copy acc to vreg[24]
v_accvgpr_read_b32 v[vgprValuC+9], acc5 // copy acc to vreg[25]
v_accvgpr_read_b32 v[vgprValuC+10], acc100 // copy acc to vreg[26]
v_accvgpr_read_b32 v[vgprValuC+11], acc101 // copy acc to vreg[27]
v_accvgpr_read_b32 v[vgprValuC+12], acc12 // copy acc to vreg[28]
v_accvgpr_read_b32 v[vgprValuC+13], acc13 // copy acc to vreg[29]
v_accvgpr_read_b32 v[vgprValuC+14], acc108 // copy acc to vreg[30]
v_accvgpr_read_b32 v[vgprValuC+15], acc109 // copy acc to vreg[31]
s_nop 1                                            // 2 wait states required before reading vgpr

/* rC *= alpha batchElements=[(2, 0, 0, 0), (2, 1, 0, 0)] */
v_mul_f64 v[16:17], s[sgprAlpha+0:sgprAlpha+0+1], v[vgprValuC+8:vgprValuC+8+1] // 
v_mul_f64 v[18:19], s[sgprAlpha+2:sgprAlpha+2+1], v[vgprValuC+8:vgprValuC+8+1] // 
v_fma_f64 v[vgprValuC+8:vgprValuC+8+1], s[sgprAlpha+2:sgprAlpha+2+1], -v[vgprValuC+10:vgprValuC+10+1], v[16:17]
v_fma_f64 v[vgprValuC+10:vgprValuC+10+1], s[sgprAlpha+0:sgprAlpha+0+1], v[vgprValuC+10:vgprValuC+10+1], v[18:19]
v_mul_f64 v[16:17], s[sgprAlpha+0:sgprAlpha+0+1], v[vgprValuC+12:vgprValuC+12+1] // 
v_mul_f64 v[18:19], s[sgprAlpha+2:sgprAlpha+2+1], v[vgprValuC+12:vgprValuC+12+1] // 
v_fma_f64 v[vgprValuC+12:vgprValuC+12+1], s[sgprAlpha+2:sgprAlpha+2+1], -v[vgprValuC+14:vgprValuC+14+1], v[16:17]
v_fma_f64 v[vgprValuC+14:vgprValuC+14+1], s[sgprAlpha+0:sgprAlpha+0+1], v[vgprValuC+14:vgprValuC+14+1], v[18:19]

/* apply mask, calc new C and issue writes */
s_mul_i32 s60, s[sgprStrideD1J], 64                // scale StrideD *= numRows(4) * bpe
s_add_u32  s[sgprSrdD+0], s[sgprSrdD+0], s60       // incToNextRow: gra SRD += inc(lower)
s_addc_u32  s[sgprSrdD+1], s[sgprSrdD+1], 0        // incToNextRow: gra SRD += inc(upper)
_buffer_store_b128 v[8:11], v6, s[sgprSrdD:sgprSrdD+3], 0, offen, offset:0,  nt // store D
_buffer_store_b128 v[12:15], v6, s[sgprSrdD:sgprSrdD+3], 0, offen, offset:512,  nt // store D
s_nop 0                                            // 1 wait state required when next inst writes vgprs held by previous dwordx4 store inst
/* optSingleColVgpr=1 optSharedColVgpr=0 optSGPRUsage=BufferLoad_Mask optSrdIncForRow=1 */
s_sleep 3 // optimization: sync and wait
s_barrier

/******************************************/
/* Global Write Alpha Batch #4 (d1,d0,vc1,vc0) = */
/*    (2,2,0,0:vw1); (3,0,0,0:vw1)        */
/******************************************/

/* calc coords, apply mask, and issue loads (if necessary) */
/* (d1,vc1,d0,vc0)=(2,0,2,0) */
/* (d1,vc1,d0,vc0)=(3,0,0,0) */
v_accvgpr_read_b32 v[vgprValuC+8], acc20 // copy acc to vreg[32]
v_accvgpr_read_b32 v[vgprValuC+9], acc21 // copy acc to vreg[33]
v_accvgpr_read_b32 v[vgprValuC+10], acc116 // copy acc to vreg[34]
v_accvgpr_read_b32 v[vgprValuC+11], acc117 // copy acc to vreg[35]
v_accvgpr_read_b32 v[vgprValuC+12], acc6 // copy acc to vreg[36]
v_accvgpr_read_b32 v[vgprValuC+13], acc7 // copy acc to vreg[37]
v_accvgpr_read_b32 v[vgprValuC+14], acc102 // copy acc to vreg[38]
v_accvgpr_read_b32 v[vgprValuC+15], acc103 // copy acc to vreg[39]
s_nop 1                                            // 2 wait states required before reading vgpr

/* rC *= alpha batchElements=[(2, 2, 0, 0), (3, 0, 0, 0)] */
v_mul_f64 v[16:17], s[sgprAlpha+0:sgprAlpha+0+1], v[vgprValuC+8:vgprValuC+8+1] // 
v_mul_f64 v[18:19], s[sgprAlpha+2:sgprAlpha+2+1], v[vgprValuC+8:vgprValuC+8+1] // 
v_fma_f64 v[vgprValuC+8:vgprValuC+8+1], s[sgprAlpha+2:sgprAlpha+2+1], -v[vgprValuC+10:vgprValuC+10+1], v[16:17]
v_fma_f64 v[vgprValuC+10:vgprValuC+10+1], s[sgprAlpha+0:sgprAlpha+0+1], v[vgprValuC+10:vgprValuC+10+1], v[18:19]
v_mul_f64 v[16:17], s[sgprAlpha+0:sgprAlpha+0+1], v[vgprValuC+12:vgprValuC+12+1] // 
v_mul_f64 v[18:19], s[sgprAlpha+2:sgprAlpha+2+1], v[vgprValuC+12:vgprValuC+12+1] // 
v_fma_f64 v[vgprValuC+12:vgprValuC+12+1], s[sgprAlpha+2:sgprAlpha+2+1], -v[vgprValuC+14:vgprValuC+14+1], v[16:17]
v_fma_f64 v[vgprValuC+14:vgprValuC+14+1], s[sgprAlpha+0:sgprAlpha+0+1], v[vgprValuC+14:vgprValuC+14+1], v[18:19]

/* apply mask, calc new C and issue writes */
_buffer_store_b128 v[8:11], v6, s[sgprSrdD:sgprSrdD+3], 0, offen, offset:1024,  nt // store D
s_mul_i32 s60, s[sgprStrideD1J], 64                // scale StrideD *= numRows(4) * bpe
s_add_u32  s[sgprSrdD+0], s[sgprSrdD+0], s60       // incToNextRow: gra SRD += inc(lower)
s_addc_u32  s[sgprSrdD+1], s[sgprSrdD+1], 0        // incToNextRow: gra SRD += inc(upper)
_buffer_store_b128 v[12:15], v6, s[sgprSrdD:sgprSrdD+3], 0, offen, offset:0,  nt // store D
s_nop 0                                            // 1 wait state required when next inst writes vgprs held by previous dwordx4 store inst
/* optSingleColVgpr=1 optSharedColVgpr=0 optSGPRUsage=BufferLoad_Mask optSrdIncForRow=1 */
s_sleep 3 // optimization: sync and wait
s_barrier

/******************************************/
/* Global Write Alpha Batch #5 (d1,d0,vc1,vc0) = */
/*    (3,1,0,0:vw1); (3,2,0,0:vw1)        */
/******************************************/

/* calc coords, apply mask, and issue loads (if necessary) */
/* (d1,vc1,d0,vc0)=(3,0,1,0) */
/* (d1,vc1,d0,vc0)=(3,0,2,0) */
v_accvgpr_read_b32 v[vgprValuC+8], acc14 // copy acc to vreg[40]
v_accvgpr_read_b32 v[vgprValuC+9], acc15 // copy acc to vreg[41]
v_accvgpr_read_b32 v[vgprValuC+10], acc110 // copy acc to vreg[42]
v_accvgpr_read_b32 v[vgprValuC+11], acc111 // copy acc to vreg[43]
v_accvgpr_read_b32 v[vgprValuC+12], acc22 // copy acc to vreg[44]
v_accvgpr_read_b32 v[vgprValuC+13], acc23 // copy acc to vreg[45]
v_accvgpr_read_b32 v[vgprValuC+14], acc118 // copy acc to vreg[46]
v_accvgpr_read_b32 v[vgprValuC+15], acc119 // copy acc to vreg[47]
s_nop 1                                            // 2 wait states required before reading vgpr

/* rC *= alpha batchElements=[(3, 1, 0, 0), (3, 2, 0, 0)] */
v_mul_f64 v[16:17], s[sgprAlpha+0:sgprAlpha+0+1], v[vgprValuC+8:vgprValuC+8+1] // 
v_mul_f64 v[18:19], s[sgprAlpha+2:sgprAlpha+2+1], v[vgprValuC+8:vgprValuC+8+1] // 
v_fma_f64 v[vgprValuC+8:vgprValuC+8+1], s[sgprAlpha+2:sgprAlpha+2+1], -v[vgprValuC+10:vgprValuC+10+1], v[16:17]
v_fma_f64 v[vgprValuC+10:vgprValuC+10+1], s[sgprAlpha+0:sgprAlpha+0+1], v[vgprValuC+10:vgprValuC+10+1], v[18:19]
v_mul_f64 v[16:17], s[sgprAlpha+0:sgprAlpha+0+1], v[vgprValuC+12:vgprValuC+12+1] // 
v_mul_f64 v[18:19], s[sgprAlpha+2:sgprAlpha+2+1], v[vgprValuC+12:vgprValuC+12+1] // 
v_fma_f64 v[vgprValuC+12:vgprValuC+12+1], s[sgprAlpha+2:sgprAlpha+2+1], -v[vgprValuC+14:vgprValuC+14+1], v[16:17]
v_fma_f64 v[vgprValuC+14:vgprValuC+14+1], s[sgprAlpha+0:sgprAlpha+0+1], v[vgprValuC+14:vgprValuC+14+1], v[18:19]

/* apply mask, calc new C and issue writes */
_buffer_store_b128 v[8:11], v6, s[sgprSrdD:sgprSrdD+3], 0, offen, offset:512,  nt // store D
_buffer_store_b128 v[12:15], v6, s[sgprSrdD:sgprSrdD+3], 0, offen, offset:1024,  nt // store D
s_nop 0                                            // 1 wait state required when next inst writes vgprs held by previous dwordx4 store inst
/* optSingleColVgpr=1 optSharedColVgpr=0 optSGPRUsage=BufferLoad_Mask optSrdIncForRow=1 */
s_sleep 3 // optimization: sync and wait
s_barrier

/******************************************/
/* Global Write Alpha Batch #6 (d1,d0,vc1,vc0) = */
/*    (4,0,0,0:vw1); (4,1,0,0:vw1)        */
/******************************************/

/* calc coords, apply mask, and issue loads (if necessary) */
/* (d1,vc1,d0,vc0)=(4,0,0,0) */
/* (d1,vc1,d0,vc0)=(4,0,1,0) */
v_accvgpr_read_b32 v[vgprValuC+8], acc24 // copy acc to vreg[48]
v_accvgpr_read_b32 v[vgprValuC+9], acc25 // copy acc to vreg[49]
v_accvgpr_read_b32 v[vgprValuC+10], acc120 // copy acc to vreg[50]
v_accvgpr_read_b32 v[vgprValuC+11], acc121 // copy acc to vreg[51]
v_accvgpr_read_b32 v[vgprValuC+12], acc32 // copy acc to vreg[52]
v_accvgpr_read_b32 v[vgprValuC+13], acc33 // copy acc to vreg[53]
v_accvgpr_read_b32 v[vgprValuC+14], acc128 // copy acc to vreg[54]
v_accvgpr_read_b32 v[vgprValuC+15], acc129 // copy acc to vreg[55]
s_nop 1                                            // 2 wait states required before reading vgpr

/* rC *= alpha batchElements=[(4, 0, 0, 0), (4, 1, 0, 0)] */
v_mul_f64 v[16:17], s[sgprAlpha+0:sgprAlpha+0+1], v[vgprValuC+8:vgprValuC+8+1] // 
v_mul_f64 v[18:19], s[sgprAlpha+2:sgprAlpha+2+1], v[vgprValuC+8:vgprValuC+8+1] // 
v_fma_f64 v[vgprValuC+8:vgprValuC+8+1], s[sgprAlpha+2:sgprAlpha+2+1], -v[vgprValuC+10:vgprValuC+10+1], v[16:17]
v_fma_f64 v[vgprValuC+10:vgprValuC+10+1], s[sgprAlpha+0:sgprAlpha+0+1], v[vgprValuC+10:vgprValuC+10+1], v[18:19]
v_mul_f64 v[16:17], s[sgprAlpha+0:sgprAlpha+0+1], v[vgprValuC+12:vgprValuC+12+1] // 
v_mul_f64 v[18:19], s[sgprAlpha+2:sgprAlpha+2+1], v[vgprValuC+12:vgprValuC+12+1] // 
v_fma_f64 v[vgprValuC+12:vgprValuC+12+1], s[sgprAlpha+2:sgprAlpha+2+1], -v[vgprValuC+14:vgprValuC+14+1], v[16:17]
v_fma_f64 v[vgprValuC+14:vgprValuC+14+1], s[sgprAlpha+0:sgprAlpha+0+1], v[vgprValuC+14:vgprValuC+14+1], v[18:19]

/* apply mask, calc new C and issue writes */
s_mul_i32 s60, s[sgprStrideD1J], 320               // scale StrideD *= numRows(20) * bpe
s_add_u32  s[sgprSrdD+0], s[sgprSrdD+0], s60       // incToNextRow: gra SRD += inc(lower)
s_addc_u32  s[sgprSrdD+1], s[sgprSrdD+1], 0        // incToNextRow: gra SRD += inc(upper)
_buffer_store_b128 v[8:11], v6, s[sgprSrdD:sgprSrdD+3], 0, offen, offset:0,  nt // store D
_buffer_store_b128 v[12:15], v6, s[sgprSrdD:sgprSrdD+3], 0, offen, offset:512,  nt // store D
s_nop 0                                            // 1 wait state required when next inst writes vgprs held by previous dwordx4 store inst
/* optSingleColVgpr=1 optSharedColVgpr=0 optSGPRUsage=BufferLoad_Mask optSrdIncForRow=1 */
s_sleep 3 // optimization: sync and wait
s_barrier

/******************************************/
/* Global Write Alpha Batch #7 (d1,d0,vc1,vc0) = */
/*    (4,2,0,0:vw1); (5,0,0,0:vw1)        */
/******************************************/

/* calc coords, apply mask, and issue loads (if necessary) */
/* (d1,vc1,d0,vc0)=(4,0,2,0) */
/* (d1,vc1,d0,vc0)=(5,0,0,0) */
v_accvgpr_read_b32 v[vgprValuC+8], acc40 // copy acc to vreg[56]
v_accvgpr_read_b32 v[vgprValuC+9], acc41 // copy acc to vreg[57]
v_accvgpr_read_b32 v[vgprValuC+10], acc136 // copy acc to vreg[58]
v_accvgpr_read_b32 v[vgprValuC+11], acc137 // copy acc to vreg[59]
v_accvgpr_read_b32 v[vgprValuC+12], acc26 // copy acc to vreg[60]
v_accvgpr_read_b32 v[vgprValuC+13], acc27 // copy acc to vreg[61]
v_accvgpr_read_b32 v[vgprValuC+14], acc122 // copy acc to vreg[62]
v_accvgpr_read_b32 v[vgprValuC+15], acc123 // copy acc to vreg[63]
s_nop 1                                            // 2 wait states required before reading vgpr

/* rC *= alpha batchElements=[(4, 2, 0, 0), (5, 0, 0, 0)] */
v_mul_f64 v[16:17], s[sgprAlpha+0:sgprAlpha+0+1], v[vgprValuC+8:vgprValuC+8+1] // 
v_mul_f64 v[18:19], s[sgprAlpha+2:sgprAlpha+2+1], v[vgprValuC+8:vgprValuC+8+1] // 
v_fma_f64 v[vgprValuC+8:vgprValuC+8+1], s[sgprAlpha+2:sgprAlpha+2+1], -v[vgprValuC+10:vgprValuC+10+1], v[16:17]
v_fma_f64 v[vgprValuC+10:vgprValuC+10+1], s[sgprAlpha+0:sgprAlpha+0+1], v[vgprValuC+10:vgprValuC+10+1], v[18:19]
v_mul_f64 v[16:17], s[sgprAlpha+0:sgprAlpha+0+1], v[vgprValuC+12:vgprValuC+12+1] // 
v_mul_f64 v[18:19], s[sgprAlpha+2:sgprAlpha+2+1], v[vgprValuC+12:vgprValuC+12+1] // 
v_fma_f64 v[vgprValuC+12:vgprValuC+12+1], s[sgprAlpha+2:sgprAlpha+2+1], -v[vgprValuC+14:vgprValuC+14+1], v[16:17]
v_fma_f64 v[vgprValuC+14:vgprValuC+14+1], s[sgprAlpha+0:sgprAlpha+0+1], v[vgprValuC+14:vgprValuC+14+1], v[18:19]

/* apply mask, calc new C and issue writes */
_buffer_store_b128 v[8:11], v6, s[sgprSrdD:sgprSrdD+3], 0, offen, offset:1024,  nt // store D
s_mul_i32 s60, s[sgprStrideD1J], 64                // scale StrideD *= numRows(4) * bpe
s_add_u32  s[sgprSrdD+0], s[sgprSrdD+0], s60       // incToNextRow: gra SRD += inc(lower)
s_addc_u32  s[sgprSrdD+1], s[sgprSrdD+1], 0        // incToNextRow: gra SRD += inc(upper)
_buffer_store_b128 v[12:15], v6, s[sgprSrdD:sgprSrdD+3], 0, offen, offset:0,  nt // store D
s_nop 0                                            // 1 wait state required when next inst writes vgprs held by previous dwordx4 store inst
/* optSingleColVgpr=1 optSharedColVgpr=0 optSGPRUsage=BufferLoad_Mask optSrdIncForRow=1 */
s_sleep 3 // optimization: sync and wait
s_barrier

/******************************************/
/* Global Write Alpha Batch #8 (d1,d0,vc1,vc0) = */
/*    (5,1,0,0:vw1); (5,2,0,0:vw1)        */
/******************************************/

/* calc coords, apply mask, and issue loads (if necessary) */
/* (d1,vc1,d0,vc0)=(5,0,1,0) */
/* (d1,vc1,d0,vc0)=(5,0,2,0) */
v_accvgpr_read_b32 v[vgprValuC+8], acc34 // copy acc to vreg[64]
v_accvgpr_read_b32 v[vgprValuC+9], acc35 // copy acc to vreg[65]
v_accvgpr_read_b32 v[vgprValuC+10], acc130 // copy acc to vreg[66]
v_accvgpr_read_b32 v[vgprValuC+11], acc131 // copy acc to vreg[67]
v_accvgpr_read_b32 v[vgprValuC+12], acc42 // copy acc to vreg[68]
v_accvgpr_read_b32 v[vgprValuC+13], acc43 // copy acc to vreg[69]
v_accvgpr_read_b32 v[vgprValuC+14], acc138 // copy acc to vreg[70]
v_accvgpr_read_b32 v[vgprValuC+15], acc139 // copy acc to vreg[71]
s_nop 1                                            // 2 wait states required before reading vgpr

/* rC *= alpha batchElements=[(5, 1, 0, 0), (5, 2, 0, 0)] */
v_mul_f64 v[16:17], s[sgprAlpha+0:sgprAlpha+0+1], v[vgprValuC+8:vgprValuC+8+1] // 
v_mul_f64 v[18:19], s[sgprAlpha+2:sgprAlpha+2+1], v[vgprValuC+8:vgprValuC+8+1] // 
v_fma_f64 v[vgprValuC+8:vgprValuC+8+1], s[sgprAlpha+2:sgprAlpha+2+1], -v[vgprValuC+10:vgprValuC+10+1], v[16:17]
v_fma_f64 v[vgprValuC+10:vgprValuC+10+1], s[sgprAlpha+0:sgprAlpha+0+1], v[vgprValuC+10:vgprValuC+10+1], v[18:19]
v_mul_f64 v[16:17], s[sgprAlpha+0:sgprAlpha+0+1], v[vgprValuC+12:vgprValuC+12+1] // 
v_mul_f64 v[18:19], s[sgprAlpha+2:sgprAlpha+2+1], v[vgprValuC+12:vgprValuC+12+1] // 
v_fma_f64 v[vgprValuC+12:vgprValuC+12+1], s[sgprAlpha+2:sgprAlpha+2+1], -v[vgprValuC+14:vgprValuC+14+1], v[16:17]
v_fma_f64 v[vgprValuC+14:vgprValuC+14+1], s[sgprAlpha+0:sgprAlpha+0+1], v[vgprValuC+14:vgprValuC+14+1], v[18:19]

/* apply mask, calc new C and issue writes */
_buffer_store_b128 v[8:11], v6, s[sgprSrdD:sgprSrdD+3], 0, offen, offset:512,  nt // store D
_buffer_store_b128 v[12:15], v6, s[sgprSrdD:sgprSrdD+3], 0, offen, offset:1024,  nt // store D
s_nop 0                                            // 1 wait state required when next inst writes vgprs held by previous dwordx4 store inst
/* optSingleColVgpr=1 optSharedColVgpr=0 optSGPRUsage=BufferLoad_Mask optSrdIncForRow=1 */
s_sleep 3 // optimization: sync and wait
s_barrier

/******************************************/
/* Global Write Alpha Batch #9 (d1,d0,vc1,vc0) = */
/*    (6,0,0,0:vw1); (6,1,0,0:vw1)        */
/******************************************/

/* calc coords, apply mask, and issue loads (if necessary) */
/* (d1,vc1,d0,vc0)=(6,0,0,0) */
/* (d1,vc1,d0,vc0)=(6,0,1,0) */
v_accvgpr_read_b32 v[vgprValuC+8], acc28 // copy acc to vreg[72]
v_accvgpr_read_b32 v[vgprValuC+9], acc29 // copy acc to vreg[73]
v_accvgpr_read_b32 v[vgprValuC+10], acc124 // copy acc to vreg[74]
v_accvgpr_read_b32 v[vgprValuC+11], acc125 // copy acc to vreg[75]
v_accvgpr_read_b32 v[vgprValuC+12], acc36 // copy acc to vreg[76]
v_accvgpr_read_b32 v[vgprValuC+13], acc37 // copy acc to vreg[77]
v_accvgpr_read_b32 v[vgprValuC+14], acc132 // copy acc to vreg[78]
v_accvgpr_read_b32 v[vgprValuC+15], acc133 // copy acc to vreg[79]
s_nop 1                                            // 2 wait states required before reading vgpr

/* rC *= alpha batchElements=[(6, 0, 0, 0), (6, 1, 0, 0)] */
v_mul_f64 v[16:17], s[sgprAlpha+0:sgprAlpha+0+1], v[vgprValuC+8:vgprValuC+8+1] // 
v_mul_f64 v[18:19], s[sgprAlpha+2:sgprAlpha+2+1], v[vgprValuC+8:vgprValuC+8+1] // 
v_fma_f64 v[vgprValuC+8:vgprValuC+8+1], s[sgprAlpha+2:sgprAlpha+2+1], -v[vgprValuC+10:vgprValuC+10+1], v[16:17]
v_fma_f64 v[vgprValuC+10:vgprValuC+10+1], s[sgprAlpha+0:sgprAlpha+0+1], v[vgprValuC+10:vgprValuC+10+1], v[18:19]
v_mul_f64 v[16:17], s[sgprAlpha+0:sgprAlpha+0+1], v[vgprValuC+12:vgprValuC+12+1] // 
v_mul_f64 v[18:19], s[sgprAlpha+2:sgprAlpha+2+1], v[vgprValuC+12:vgprValuC+12+1] // 
v_fma_f64 v[vgprValuC+12:vgprValuC+12+1], s[sgprAlpha+2:sgprAlpha+2+1], -v[vgprValuC+14:vgprValuC+14+1], v[16:17]
v_fma_f64 v[vgprValuC+14:vgprValuC+14+1], s[sgprAlpha+0:sgprAlpha+0+1], v[vgprValuC+14:vgprValuC+14+1], v[18:19]

/* apply mask, calc new C and issue writes */
s_mul_i32 s60, s[sgprStrideD1J], 64                // scale StrideD *= numRows(4) * bpe
s_add_u32  s[sgprSrdD+0], s[sgprSrdD+0], s60       // incToNextRow: gra SRD += inc(lower)
s_addc_u32  s[sgprSrdD+1], s[sgprSrdD+1], 0        // incToNextRow: gra SRD += inc(upper)
_buffer_store_b128 v[8:11], v6, s[sgprSrdD:sgprSrdD+3], 0, offen, offset:0,  nt // store D
_buffer_store_b128 v[12:15], v6, s[sgprSrdD:sgprSrdD+3], 0, offen, offset:512,  nt // store D
s_nop 0                                            // 1 wait state required when next inst writes vgprs held by previous dwordx4 store inst
/* optSingleColVgpr=1 optSharedColVgpr=0 optSGPRUsage=BufferLoad_Mask optSrdIncForRow=1 */
s_sleep 3 // optimization: sync and wait
s_barrier

/******************************************/
/* Global Write Alpha Batch #10 (d1,d0,vc1,vc0) = */
/*    (6,2,0,0:vw1); (7,0,0,0:vw1)        */
/******************************************/

/* calc coords, apply mask, and issue loads (if necessary) */
/* (d1,vc1,d0,vc0)=(6,0,2,0) */
/* (d1,vc1,d0,vc0)=(7,0,0,0) */
v_accvgpr_read_b32 v[vgprValuC+8], acc44 // copy acc to vreg[80]
v_accvgpr_read_b32 v[vgprValuC+9], acc45 // copy acc to vreg[81]
v_accvgpr_read_b32 v[vgprValuC+10], acc140 // copy acc to vreg[82]
v_accvgpr_read_b32 v[vgprValuC+11], acc141 // copy acc to vreg[83]
v_accvgpr_read_b32 v[vgprValuC+12], acc30 // copy acc to vreg[84]
v_accvgpr_read_b32 v[vgprValuC+13], acc31 // copy acc to vreg[85]
v_accvgpr_read_b32 v[vgprValuC+14], acc126 // copy acc to vreg[86]
v_accvgpr_read_b32 v[vgprValuC+15], acc127 // copy acc to vreg[87]
s_nop 1                                            // 2 wait states required before reading vgpr

/* rC *= alpha batchElements=[(6, 2, 0, 0), (7, 0, 0, 0)] */
v_mul_f64 v[16:17], s[sgprAlpha+0:sgprAlpha+0+1], v[vgprValuC+8:vgprValuC+8+1] // 
v_mul_f64 v[18:19], s[sgprAlpha+2:sgprAlpha+2+1], v[vgprValuC+8:vgprValuC+8+1] // 
v_fma_f64 v[vgprValuC+8:vgprValuC+8+1], s[sgprAlpha+2:sgprAlpha+2+1], -v[vgprValuC+10:vgprValuC+10+1], v[16:17]
v_fma_f64 v[vgprValuC+10:vgprValuC+10+1], s[sgprAlpha+0:sgprAlpha+0+1], v[vgprValuC+10:vgprValuC+10+1], v[18:19]
v_mul_f64 v[16:17], s[sgprAlpha+0:sgprAlpha+0+1], v[vgprValuC+12:vgprValuC+12+1] // 
v_mul_f64 v[18:19], s[sgprAlpha+2:sgprAlpha+2+1], v[vgprValuC+12:vgprValuC+12+1] // 
v_fma_f64 v[vgprValuC+12:vgprValuC+12+1], s[sgprAlpha+2:sgprAlpha+2+1], -v[vgprValuC+14:vgprValuC+14+1], v[16:17]
v_fma_f64 v[vgprValuC+14:vgprValuC+14+1], s[sgprAlpha+0:sgprAlpha+0+1], v[vgprValuC+14:vgprValuC+14+1], v[18:19]

/* apply mask, calc new C and issue writes */
_buffer_store_b128 v[8:11], v6, s[sgprSrdD:sgprSrdD+3], 0, offen, offset:1024,  nt // store D
s_mul_i32 s60, s[sgprStrideD1J], 64                // scale StrideD *= numRows(4) * bpe
s_add_u32  s[sgprSrdD+0], s[sgprSrdD+0], s60       // incToNextRow: gra SRD += inc(lower)
s_addc_u32  s[sgprSrdD+1], s[sgprSrdD+1], 0        // incToNextRow: gra SRD += inc(upper)
_buffer_store_b128 v[12:15], v6, s[sgprSrdD:sgprSrdD+3], 0, offen, offset:0,  nt // store D
s_nop 0                                            // 1 wait state required when next inst writes vgprs held by previous dwordx4 store inst
/* optSingleColVgpr=1 optSharedColVgpr=0 optSGPRUsage=BufferLoad_Mask optSrdIncForRow=1 */
s_sleep 3 // optimization: sync and wait
s_barrier

/******************************************/
/* Global Write Alpha Batch #11 (d1,d0,vc1,vc0) = */
/*    (7,1,0,0:vw1); (7,2,0,0:vw1)        */
/******************************************/

/* calc coords, apply mask, and issue loads (if necessary) */
/* (d1,vc1,d0,vc0)=(7,0,1,0) */
/* (d1,vc1,d0,vc0)=(7,0,2,0) */
v_accvgpr_read_b32 v[vgprValuC+8], acc38 // copy acc to vreg[88]
v_accvgpr_read_b32 v[vgprValuC+9], acc39 // copy acc to vreg[89]
v_accvgpr_read_b32 v[vgprValuC+10], acc134 // copy acc to vreg[90]
v_accvgpr_read_b32 v[vgprValuC+11], acc135 // copy acc to vreg[91]
v_accvgpr_read_b32 v[vgprValuC+12], acc46 // copy acc to vreg[92]
v_accvgpr_read_b32 v[vgprValuC+13], acc47 // copy acc to vreg[93]
v_accvgpr_read_b32 v[vgprValuC+14], acc142 // copy acc to vreg[94]
v_accvgpr_read_b32 v[vgprValuC+15], acc143 // copy acc to vreg[95]
s_nop 1                                            // 2 wait states required before reading vgpr

/* rC *= alpha batchElements=[(7, 1, 0, 0), (7, 2, 0, 0)] */
v_mul_f64 v[16:17], s[sgprAlpha+0:sgprAlpha+0+1], v[vgprValuC+8:vgprValuC+8+1] // 
v_mul_f64 v[18:19], s[sgprAlpha+2:sgprAlpha+2+1], v[vgprValuC+8:vgprValuC+8+1] // 
v_fma_f64 v[vgprValuC+8:vgprValuC+8+1], s[sgprAlpha+2:sgprAlpha+2+1], -v[vgprValuC+10:vgprValuC+10+1], v[16:17]
v_fma_f64 v[vgprValuC+10:vgprValuC+10+1], s[sgprAlpha+0:sgprAlpha+0+1], v[vgprValuC+10:vgprValuC+10+1], v[18:19]
v_mul_f64 v[16:17], s[sgprAlpha+0:sgprAlpha+0+1], v[vgprValuC+12:vgprValuC+12+1] // 
v_mul_f64 v[18:19], s[sgprAlpha+2:sgprAlpha+2+1], v[vgprValuC+12:vgprValuC+12+1] // 
v_fma_f64 v[vgprValuC+12:vgprValuC+12+1], s[sgprAlpha+2:sgprAlpha+2+1], -v[vgprValuC+14:vgprValuC+14+1], v[16:17]
v_fma_f64 v[vgprValuC+14:vgprValuC+14+1], s[sgprAlpha+0:sgprAlpha+0+1], v[vgprValuC+14:vgprValuC+14+1], v[18:19]

/* apply mask, calc new C and issue writes */
_buffer_store_b128 v[8:11], v6, s[sgprSrdD:sgprSrdD+3], 0, offen, offset:512,  nt // store D
_buffer_store_b128 v[12:15], v6, s[sgprSrdD:sgprSrdD+3], 0, offen, offset:1024,  nt // store D
s_nop 0                                            // 1 wait state required when next inst writes vgprs held by previous dwordx4 store inst
/* optSingleColVgpr=1 optSharedColVgpr=0 optSGPRUsage=BufferLoad_Mask optSrdIncForRow=1 */
s_sleep 3 // optimization: sync and wait
s_barrier

/******************************************/
/* Global Write Alpha Batch #12 (d1,d0,vc1,vc0) = */
/*    (8,0,0,0:vw1); (8,1,0,0:vw1)        */
/******************************************/

/* calc coords, apply mask, and issue loads (if necessary) */
/* (d1,vc1,d0,vc0)=(8,0,0,0) */
/* (d1,vc1,d0,vc0)=(8,0,1,0) */
v_accvgpr_read_b32 v[vgprValuC+8], acc48 // copy acc to vreg[96]
v_accvgpr_read_b32 v[vgprValuC+9], acc49 // copy acc to vreg[97]
v_accvgpr_read_b32 v[vgprValuC+10], acc144 // copy acc to vreg[98]
v_accvgpr_read_b32 v[vgprValuC+11], acc145 // copy acc to vreg[99]
v_accvgpr_read_b32 v[vgprValuC+12], acc56 // copy acc to vreg[100]
v_accvgpr_read_b32 v[vgprValuC+13], acc57 // copy acc to vreg[101]
v_accvgpr_read_b32 v[vgprValuC+14], acc152 // copy acc to vreg[102]
v_accvgpr_read_b32 v[vgprValuC+15], acc153 // copy acc to vreg[103]
s_nop 1                                            // 2 wait states required before reading vgpr

/* rC *= alpha batchElements=[(8, 0, 0, 0), (8, 1, 0, 0)] */
v_mul_f64 v[16:17], s[sgprAlpha+0:sgprAlpha+0+1], v[vgprValuC+8:vgprValuC+8+1] // 
v_mul_f64 v[18:19], s[sgprAlpha+2:sgprAlpha+2+1], v[vgprValuC+8:vgprValuC+8+1] // 
v_fma_f64 v[vgprValuC+8:vgprValuC+8+1], s[sgprAlpha+2:sgprAlpha+2+1], -v[vgprValuC+10:vgprValuC+10+1], v[16:17]
v_fma_f64 v[vgprValuC+10:vgprValuC+10+1], s[sgprAlpha+0:sgprAlpha+0+1], v[vgprValuC+10:vgprValuC+10+1], v[18:19]
v_mul_f64 v[16:17], s[sgprAlpha+0:sgprAlpha+0+1], v[vgprValuC+12:vgprValuC+12+1] // 
v_mul_f64 v[18:19], s[sgprAlpha+2:sgprAlpha+2+1], v[vgprValuC+12:vgprValuC+12+1] // 
v_fma_f64 v[vgprValuC+12:vgprValuC+12+1], s[sgprAlpha+2:sgprAlpha+2+1], -v[vgprValuC+14:vgprValuC+14+1], v[16:17]
v_fma_f64 v[vgprValuC+14:vgprValuC+14+1], s[sgprAlpha+0:sgprAlpha+0+1], v[vgprValuC+14:vgprValuC+14+1], v[18:19]

/* apply mask, calc new C and issue writes */
s_mul_i32 s60, s[sgprStrideD1J], 320               // scale StrideD *= numRows(20) * bpe
s_add_u32  s[sgprSrdD+0], s[sgprSrdD+0], s60       // incToNextRow: gra SRD += inc(lower)
s_addc_u32  s[sgprSrdD+1], s[sgprSrdD+1], 0        // incToNextRow: gra SRD += inc(upper)
_buffer_store_b128 v[8:11], v6, s[sgprSrdD:sgprSrdD+3], 0, offen, offset:0,  nt // store D
_buffer_store_b128 v[12:15], v6, s[sgprSrdD:sgprSrdD+3], 0, offen, offset:512,  nt // store D
s_nop 0                                            // 1 wait state required when next inst writes vgprs held by previous dwordx4 store inst
/* optSingleColVgpr=1 optSharedColVgpr=0 optSGPRUsage=BufferLoad_Mask optSrdIncForRow=1 */
s_sleep 3 // optimization: sync and wait
s_barrier

/******************************************/
/* Global Write Alpha Batch #13 (d1,d0,vc1,vc0) = */
/*    (8,2,0,0:vw1); (9,0,0,0:vw1)        */
/******************************************/

/* calc coords, apply mask, and issue loads (if necessary) */
/* (d1,vc1,d0,vc0)=(8,0,2,0) */
/* (d1,vc1,d0,vc0)=(9,0,0,0) */
v_accvgpr_read_b32 v[vgprValuC+8], acc64 // copy acc to vreg[104]
v_accvgpr_read_b32 v[vgprValuC+9], acc65 // copy acc to vreg[105]
v_accvgpr_read_b32 v[vgprValuC+10], acc160 // copy acc to vreg[106]
v_accvgpr_read_b32 v[vgprValuC+11], acc161 // copy acc to vreg[107]
v_accvgpr_read_b32 v[vgprValuC+12], acc50 // copy acc to vreg[108]
v_accvgpr_read_b32 v[vgprValuC+13], acc51 // copy acc to vreg[109]
v_accvgpr_read_b32 v[vgprValuC+14], acc146 // copy acc to vreg[110]
v_accvgpr_read_b32 v[vgprValuC+15], acc147 // copy acc to vreg[111]
s_nop 1                                            // 2 wait states required before reading vgpr

/* rC *= alpha batchElements=[(8, 2, 0, 0), (9, 0, 0, 0)] */
v_mul_f64 v[16:17], s[sgprAlpha+0:sgprAlpha+0+1], v[vgprValuC+8:vgprValuC+8+1] // 
v_mul_f64 v[18:19], s[sgprAlpha+2:sgprAlpha+2+1], v[vgprValuC+8:vgprValuC+8+1] // 
v_fma_f64 v[vgprValuC+8:vgprValuC+8+1], s[sgprAlpha+2:sgprAlpha+2+1], -v[vgprValuC+10:vgprValuC+10+1], v[16:17]
v_fma_f64 v[vgprValuC+10:vgprValuC+10+1], s[sgprAlpha+0:sgprAlpha+0+1], v[vgprValuC+10:vgprValuC+10+1], v[18:19]
v_mul_f64 v[16:17], s[sgprAlpha+0:sgprAlpha+0+1], v[vgprValuC+12:vgprValuC+12+1] // 
v_mul_f64 v[18:19], s[sgprAlpha+2:sgprAlpha+2+1], v[vgprValuC+12:vgprValuC+12+1] // 
v_fma_f64 v[vgprValuC+12:vgprValuC+12+1], s[sgprAlpha+2:sgprAlpha+2+1], -v[vgprValuC+14:vgprValuC+14+1], v[16:17]
v_fma_f64 v[vgprValuC+14:vgprValuC+14+1], s[sgprAlpha+0:sgprAlpha+0+1], v[vgprValuC+14:vgprValuC+14+1], v[18:19]

/* apply mask, calc new C and issue writes */
_buffer_store_b128 v[8:11], v6, s[sgprSrdD:sgprSrdD+3], 0, offen, offset:1024,  nt // store D
s_mul_i32 s60, s[sgprStrideD1J], 64                // scale StrideD *= numRows(4) * bpe
s_add_u32  s[sgprSrdD+0], s[sgprSrdD+0], s60       // incToNextRow: gra SRD += inc(lower)
s_addc_u32  s[sgprSrdD+1], s[sgprSrdD+1], 0        // incToNextRow: gra SRD += inc(upper)
_buffer_store_b128 v[12:15], v6, s[sgprSrdD:sgprSrdD+3], 0, offen, offset:0,  nt // store D
s_nop 0                                            // 1 wait state required when next inst writes vgprs held by previous dwordx4 store inst
/* optSingleColVgpr=1 optSharedColVgpr=0 optSGPRUsage=BufferLoad_Mask optSrdIncForRow=1 */
s_sleep 3 // optimization: sync and wait
s_barrier

/******************************************/
/* Global Write Alpha Batch #14 (d1,d0,vc1,vc0) = */
/*    (9,1,0,0:vw1); (9,2,0,0:vw1)        */
/******************************************/

/* calc coords, apply mask, and issue loads (if necessary) */
/* (d1,vc1,d0,vc0)=(9,0,1,0) */
/* (d1,vc1,d0,vc0)=(9,0,2,0) */
v_accvgpr_read_b32 v[vgprValuC+8], acc58 // copy acc to vreg[112]
v_accvgpr_read_b32 v[vgprValuC+9], acc59 // copy acc to vreg[113]
v_accvgpr_read_b32 v[vgprValuC+10], acc154 // copy acc to vreg[114]
v_accvgpr_read_b32 v[vgprValuC+11], acc155 // copy acc to vreg[115]
v_accvgpr_read_b32 v[vgprValuC+12], acc66 // copy acc to vreg[116]
v_accvgpr_read_b32 v[vgprValuC+13], acc67 // copy acc to vreg[117]
v_accvgpr_read_b32 v[vgprValuC+14], acc162 // copy acc to vreg[118]
v_accvgpr_read_b32 v[vgprValuC+15], acc163 // copy acc to vreg[119]
s_nop 1                                            // 2 wait states required before reading vgpr

/* rC *= alpha batchElements=[(9, 1, 0, 0), (9, 2, 0, 0)] */
v_mul_f64 v[16:17], s[sgprAlpha+0:sgprAlpha+0+1], v[vgprValuC+8:vgprValuC+8+1] // 
v_mul_f64 v[18:19], s[sgprAlpha+2:sgprAlpha+2+1], v[vgprValuC+8:vgprValuC+8+1] // 
v_fma_f64 v[vgprValuC+8:vgprValuC+8+1], s[sgprAlpha+2:sgprAlpha+2+1], -v[vgprValuC+10:vgprValuC+10+1], v[16:17]
v_fma_f64 v[vgprValuC+10:vgprValuC+10+1], s[sgprAlpha+0:sgprAlpha+0+1], v[vgprValuC+10:vgprValuC+10+1], v[18:19]
v_mul_f64 v[16:17], s[sgprAlpha+0:sgprAlpha+0+1], v[vgprValuC+12:vgprValuC+12+1] // 
v_mul_f64 v[18:19], s[sgprAlpha+2:sgprAlpha+2+1], v[vgprValuC+12:vgprValuC+12+1] // 
v_fma_f64 v[vgprValuC+12:vgprValuC+12+1], s[sgprAlpha+2:sgprAlpha+2+1], -v[vgprValuC+14:vgprValuC+14+1], v[16:17]
v_fma_f64 v[vgprValuC+14:vgprValuC+14+1], s[sgprAlpha+0:sgprAlpha+0+1], v[vgprValuC+14:vgprValuC+14+1], v[18:19]

/* apply mask, calc new C and issue writes */
_buffer_store_b128 v[8:11], v6, s[sgprSrdD:sgprSrdD+3], 0, offen, offset:512,  nt // store D
_buffer_store_b128 v[12:15], v6, s[sgprSrdD:sgprSrdD+3], 0, offen, offset:1024,  nt // store D
s_nop 0                                            // 1 wait state required when next inst writes vgprs held by previous dwordx4 store inst
/* optSingleColVgpr=1 optSharedColVgpr=0 optSGPRUsage=BufferLoad_Mask optSrdIncForRow=1 */
s_sleep 3 // optimization: sync and wait
s_barrier

/******************************************/
/* Global Write Alpha Batch #15 (d1,d0,vc1,vc0) = */
/*    (10,0,0,0:vw1); (10,1,0,0:vw1)      */
/******************************************/

/* calc coords, apply mask, and issue loads (if necessary) */
/* (d1,vc1,d0,vc0)=(10,0,0,0) */
/* (d1,vc1,d0,vc0)=(10,0,1,0) */
v_accvgpr_read_b32 v[vgprValuC+8], acc52 // copy acc to vreg[120]
v_accvgpr_read_b32 v[vgprValuC+9], acc53 // copy acc to vreg[121]
v_accvgpr_read_b32 v[vgprValuC+10], acc148 // copy acc to vreg[122]
v_accvgpr_read_b32 v[vgprValuC+11], acc149 // copy acc to vreg[123]
v_accvgpr_read_b32 v[vgprValuC+12], acc60 // copy acc to vreg[124]
v_accvgpr_read_b32 v[vgprValuC+13], acc61 // copy acc to vreg[125]
v_accvgpr_read_b32 v[vgprValuC+14], acc156 // copy acc to vreg[126]
v_accvgpr_read_b32 v[vgprValuC+15], acc157 // copy acc to vreg[127]
s_nop 1                                            // 2 wait states required before reading vgpr

/* rC *= alpha batchElements=[(10, 0, 0, 0), (10, 1, 0, 0)] */
v_mul_f64 v[16:17], s[sgprAlpha+0:sgprAlpha+0+1], v[vgprValuC+8:vgprValuC+8+1] // 
v_mul_f64 v[18:19], s[sgprAlpha+2:sgprAlpha+2+1], v[vgprValuC+8:vgprValuC+8+1] // 
v_fma_f64 v[vgprValuC+8:vgprValuC+8+1], s[sgprAlpha+2:sgprAlpha+2+1], -v[vgprValuC+10:vgprValuC+10+1], v[16:17]
v_fma_f64 v[vgprValuC+10:vgprValuC+10+1], s[sgprAlpha+0:sgprAlpha+0+1], v[vgprValuC+10:vgprValuC+10+1], v[18:19]
v_mul_f64 v[16:17], s[sgprAlpha+0:sgprAlpha+0+1], v[vgprValuC+12:vgprValuC+12+1] // 
v_mul_f64 v[18:19], s[sgprAlpha+2:sgprAlpha+2+1], v[vgprValuC+12:vgprValuC+12+1] // 
v_fma_f64 v[vgprValuC+12:vgprValuC+12+1], s[sgprAlpha+2:sgprAlpha+2+1], -v[vgprValuC+14:vgprValuC+14+1], v[16:17]
v_fma_f64 v[vgprValuC+14:vgprValuC+14+1], s[sgprAlpha+0:sgprAlpha+0+1], v[vgprValuC+14:vgprValuC+14+1], v[18:19]

/* apply mask, calc new C and issue writes */
s_mul_i32 s60, s[sgprStrideD1J], 64                // scale StrideD *= numRows(4) * bpe
s_add_u32  s[sgprSrdD+0], s[sgprSrdD+0], s60       // incToNextRow: gra SRD += inc(lower)
s_addc_u32  s[sgprSrdD+1], s[sgprSrdD+1], 0        // incToNextRow: gra SRD += inc(upper)
_buffer_store_b128 v[8:11], v6, s[sgprSrdD:sgprSrdD+3], 0, offen, offset:0,  nt // store D
_buffer_store_b128 v[12:15], v6, s[sgprSrdD:sgprSrdD+3], 0, offen, offset:512,  nt // store D
s_nop 0                                            // 1 wait state required when next inst writes vgprs held by previous dwordx4 store inst
/* optSingleColVgpr=1 optSharedColVgpr=0 optSGPRUsage=BufferLoad_Mask optSrdIncForRow=1 */
s_sleep 3 // optimization: sync and wait
s_barrier

/******************************************/
/* Global Write Alpha Batch #16 (d1,d0,vc1,vc0) = */
/*    (10,2,0,0:vw1); (11,0,0,0:vw1)      */
/******************************************/

/* calc coords, apply mask, and issue loads (if necessary) */
/* (d1,vc1,d0,vc0)=(10,0,2,0) */
/* (d1,vc1,d0,vc0)=(11,0,0,0) */
v_accvgpr_read_b32 v[vgprValuC+8], acc68 // copy acc to vreg[128]
v_accvgpr_read_b32 v[vgprValuC+9], acc69 // copy acc to vreg[129]
v_accvgpr_read_b32 v[vgprValuC+10], acc164 // copy acc to vreg[130]
v_accvgpr_read_b32 v[vgprValuC+11], acc165 // copy acc to vreg[131]
v_accvgpr_read_b32 v[vgprValuC+12], acc54 // copy acc to vreg[132]
v_accvgpr_read_b32 v[vgprValuC+13], acc55 // copy acc to vreg[133]
v_accvgpr_read_b32 v[vgprValuC+14], acc150 // copy acc to vreg[134]
v_accvgpr_read_b32 v[vgprValuC+15], acc151 // copy acc to vreg[135]
s_nop 1                                            // 2 wait states required before reading vgpr

/* rC *= alpha batchElements=[(10, 2, 0, 0), (11, 0, 0, 0)] */
v_mul_f64 v[16:17], s[sgprAlpha+0:sgprAlpha+0+1], v[vgprValuC+8:vgprValuC+8+1] // 
v_mul_f64 v[18:19], s[sgprAlpha+2:sgprAlpha+2+1], v[vgprValuC+8:vgprValuC+8+1] // 
v_fma_f64 v[vgprValuC+8:vgprValuC+8+1], s[sgprAlpha+2:sgprAlpha+2+1], -v[vgprValuC+10:vgprValuC+10+1], v[16:17]
v_fma_f64 v[vgprValuC+10:vgprValuC+10+1], s[sgprAlpha+0:sgprAlpha+0+1], v[vgprValuC+10:vgprValuC+10+1], v[18:19]
v_mul_f64 v[16:17], s[sgprAlpha+0:sgprAlpha+0+1], v[vgprValuC+12:vgprValuC+12+1] // 
v_mul_f64 v[18:19], s[sgprAlpha+2:sgprAlpha+2+1], v[vgprValuC+12:vgprValuC+12+1] // 
v_fma_f64 v[vgprValuC+12:vgprValuC+12+1], s[sgprAlpha+2:sgprAlpha+2+1], -v[vgprValuC+14:vgprValuC+14+1], v[16:17]
v_fma_f64 v[vgprValuC+14:vgprValuC+14+1], s[sgprAlpha+0:sgprAlpha+0+1], v[vgprValuC+14:vgprValuC+14+1], v[18:19]

/* apply mask, calc new C and issue writes */
_buffer_store_b128 v[8:11], v6, s[sgprSrdD:sgprSrdD+3], 0, offen, offset:1024,  nt // store D
s_mul_i32 s60, s[sgprStrideD1J], 64                // scale StrideD *= numRows(4) * bpe
s_add_u32  s[sgprSrdD+0], s[sgprSrdD+0], s60       // incToNextRow: gra SRD += inc(lower)
s_addc_u32  s[sgprSrdD+1], s[sgprSrdD+1], 0        // incToNextRow: gra SRD += inc(upper)
_buffer_store_b128 v[12:15], v6, s[sgprSrdD:sgprSrdD+3], 0, offen, offset:0,  nt // store D
s_nop 0                                            // 1 wait state required when next inst writes vgprs held by previous dwordx4 store inst
/* optSingleColVgpr=1 optSharedColVgpr=0 optSGPRUsage=BufferLoad_Mask optSrdIncForRow=1 */
s_sleep 3 // optimization: sync and wait
s_barrier

/******************************************/
/* Global Write Alpha Batch #17 (d1,d0,vc1,vc0) = */
/*    (11,1,0,0:vw1); (11,2,0,0:vw1)      */
/******************************************/

/* calc coords, apply mask, and issue loads (if necessary) */
/* (d1,vc1,d0,vc0)=(11,0,1,0) */
/* (d1,vc1,d0,vc0)=(11,0,2,0) */
v_accvgpr_read_b32 v[vgprValuC+8], acc62 // copy acc to vreg[136]
v_accvgpr_read_b32 v[vgprValuC+9], acc63 // copy acc to vreg[137]
v_accvgpr_read_b32 v[vgprValuC+10], acc158 // copy acc to vreg[138]
v_accvgpr_read_b32 v[vgprValuC+11], acc159 // copy acc to vreg[139]
v_accvgpr_read_b32 v[vgprValuC+12], acc70 // copy acc to vreg[140]
v_accvgpr_read_b32 v[vgprValuC+13], acc71 // copy acc to vreg[141]
v_accvgpr_read_b32 v[vgprValuC+14], acc166 // copy acc to vreg[142]
v_accvgpr_read_b32 v[vgprValuC+15], acc167 // copy acc to vreg[143]
s_nop 1                                            // 2 wait states required before reading vgpr

/* rC *= alpha batchElements=[(11, 1, 0, 0), (11, 2, 0, 0)] */
v_mul_f64 v[16:17], s[sgprAlpha+0:sgprAlpha+0+1], v[vgprValuC+8:vgprValuC+8+1] // 
v_mul_f64 v[18:19], s[sgprAlpha+2:sgprAlpha+2+1], v[vgprValuC+8:vgprValuC+8+1] // 
v_fma_f64 v[vgprValuC+8:vgprValuC+8+1], s[sgprAlpha+2:sgprAlpha+2+1], -v[vgprValuC+10:vgprValuC+10+1], v[16:17]
v_fma_f64 v[vgprValuC+10:vgprValuC+10+1], s[sgprAlpha+0:sgprAlpha+0+1], v[vgprValuC+10:vgprValuC+10+1], v[18:19]
v_mul_f64 v[16:17], s[sgprAlpha+0:sgprAlpha+0+1], v[vgprValuC+12:vgprValuC+12+1] // 
v_mul_f64 v[18:19], s[sgprAlpha+2:sgprAlpha+2+1], v[vgprValuC+12:vgprValuC+12+1] // 
v_fma_f64 v[vgprValuC+12:vgprValuC+12+1], s[sgprAlpha+2:sgprAlpha+2+1], -v[vgprValuC+14:vgprValuC+14+1], v[16:17]
v_fma_f64 v[vgprValuC+14:vgprValuC+14+1], s[sgprAlpha+0:sgprAlpha+0+1], v[vgprValuC+14:vgprValuC+14+1], v[18:19]

/* apply mask, calc new C and issue writes */
_buffer_store_b128 v[8:11], v6, s[sgprSrdD:sgprSrdD+3], 0, offen, offset:512,  nt // store D
_buffer_store_b128 v[12:15], v6, s[sgprSrdD:sgprSrdD+3], 0, offen, offset:1024,  nt // store D
s_nop 0                                            // 1 wait state required when next inst writes vgprs held by previous dwordx4 store inst
/* optSingleColVgpr=1 optSharedColVgpr=0 optSGPRUsage=BufferLoad_Mask optSrdIncForRow=1 */
s_sleep 3 // optimization: sync and wait
s_barrier

/******************************************/
/* Global Write Alpha Batch #18 (d1,d0,vc1,vc0) = */
/*    (12,0,0,0:vw1); (12,1,0,0:vw1)      */
/******************************************/

/* calc coords, apply mask, and issue loads (if necessary) */
/* (d1,vc1,d0,vc0)=(12,0,0,0) */
/* (d1,vc1,d0,vc0)=(12,0,1,0) */
v_accvgpr_read_b32 v[vgprValuC+8], acc72 // copy acc to vreg[144]
v_accvgpr_read_b32 v[vgprValuC+9], acc73 // copy acc to vreg[145]
v_accvgpr_read_b32 v[vgprValuC+10], acc168 // copy acc to vreg[146]
v_accvgpr_read_b32 v[vgprValuC+11], acc169 // copy acc to vreg[147]
v_accvgpr_read_b32 v[vgprValuC+12], acc80 // copy acc to vreg[148]
v_accvgpr_read_b32 v[vgprValuC+13], acc81 // copy acc to vreg[149]
v_accvgpr_read_b32 v[vgprValuC+14], acc176 // copy acc to vreg[150]
v_accvgpr_read_b32 v[vgprValuC+15], acc177 // copy acc to vreg[151]
s_nop 1                                            // 2 wait states required before reading vgpr

/* rC *= alpha batchElements=[(12, 0, 0, 0), (12, 1, 0, 0)] */
v_mul_f64 v[16:17], s[sgprAlpha+0:sgprAlpha+0+1], v[vgprValuC+8:vgprValuC+8+1] // 
v_mul_f64 v[18:19], s[sgprAlpha+2:sgprAlpha+2+1], v[vgprValuC+8:vgprValuC+8+1] // 
v_fma_f64 v[vgprValuC+8:vgprValuC+8+1], s[sgprAlpha+2:sgprAlpha+2+1], -v[vgprValuC+10:vgprValuC+10+1], v[16:17]
v_fma_f64 v[vgprValuC+10:vgprValuC+10+1], s[sgprAlpha+0:sgprAlpha+0+1], v[vgprValuC+10:vgprValuC+10+1], v[18:19]
v_mul_f64 v[16:17], s[sgprAlpha+0:sgprAlpha+0+1], v[vgprValuC+12:vgprValuC+12+1] // 
v_mul_f64 v[18:19], s[sgprAlpha+2:sgprAlpha+2+1], v[vgprValuC+12:vgprValuC+12+1] // 
v_fma_f64 v[vgprValuC+12:vgprValuC+12+1], s[sgprAlpha+2:sgprAlpha+2+1], -v[vgprValuC+14:vgprValuC+14+1], v[16:17]
v_fma_f64 v[vgprValuC+14:vgprValuC+14+1], s[sgprAlpha+0:sgprAlpha+0+1], v[vgprValuC+14:vgprValuC+14+1], v[18:19]

/* apply mask, calc new C and issue writes */
s_mul_i32 s60, s[sgprStrideD1J], 320               // scale StrideD *= numRows(20) * bpe
s_add_u32  s[sgprSrdD+0], s[sgprSrdD+0], s60       // incToNextRow: gra SRD += inc(lower)
s_addc_u32  s[sgprSrdD+1], s[sgprSrdD+1], 0        // incToNextRow: gra SRD += inc(upper)
_buffer_store_b128 v[8:11], v6, s[sgprSrdD:sgprSrdD+3], 0, offen, offset:0,  nt // store D
_buffer_store_b128 v[12:15], v6, s[sgprSrdD:sgprSrdD+3], 0, offen, offset:512,  nt // store D
s_nop 0                                            // 1 wait state required when next inst writes vgprs held by previous dwordx4 store inst
/* optSingleColVgpr=1 optSharedColVgpr=0 optSGPRUsage=BufferLoad_Mask optSrdIncForRow=1 */
s_sleep 3 // optimization: sync and wait
s_barrier

/******************************************/
/* Global Write Alpha Batch #19 (d1,d0,vc1,vc0) = */
/*    (12,2,0,0:vw1); (13,0,0,0:vw1)      */
/******************************************/

/* calc coords, apply mask, and issue loads (if necessary) */
/* (d1,vc1,d0,vc0)=(12,0,2,0) */
/* (d1,vc1,d0,vc0)=(13,0,0,0) */
v_accvgpr_read_b32 v[vgprValuC+8], acc88 // copy acc to vreg[152]
v_accvgpr_read_b32 v[vgprValuC+9], acc89 // copy acc to vreg[153]
v_accvgpr_read_b32 v[vgprValuC+10], acc184 // copy acc to vreg[154]
v_accvgpr_read_b32 v[vgprValuC+11], acc185 // copy acc to vreg[155]
v_accvgpr_read_b32 v[vgprValuC+12], acc74 // copy acc to vreg[156]
v_accvgpr_read_b32 v[vgprValuC+13], acc75 // copy acc to vreg[157]
v_accvgpr_read_b32 v[vgprValuC+14], acc170 // copy acc to vreg[158]
v_accvgpr_read_b32 v[vgprValuC+15], acc171 // copy acc to vreg[159]
s_nop 1                                            // 2 wait states required before reading vgpr

/* rC *= alpha batchElements=[(12, 2, 0, 0), (13, 0, 0, 0)] */
v_mul_f64 v[16:17], s[sgprAlpha+0:sgprAlpha+0+1], v[vgprValuC+8:vgprValuC+8+1] // 
v_mul_f64 v[18:19], s[sgprAlpha+2:sgprAlpha+2+1], v[vgprValuC+8:vgprValuC+8+1] // 
v_fma_f64 v[vgprValuC+8:vgprValuC+8+1], s[sgprAlpha+2:sgprAlpha+2+1], -v[vgprValuC+10:vgprValuC+10+1], v[16:17]
v_fma_f64 v[vgprValuC+10:vgprValuC+10+1], s[sgprAlpha+0:sgprAlpha+0+1], v[vgprValuC+10:vgprValuC+10+1], v[18:19]
v_mul_f64 v[16:17], s[sgprAlpha+0:sgprAlpha+0+1], v[vgprValuC+12:vgprValuC+12+1] // 
v_mul_f64 v[18:19], s[sgprAlpha+2:sgprAlpha+2+1], v[vgprValuC+12:vgprValuC+12+1] // 
v_fma_f64 v[vgprValuC+12:vgprValuC+12+1], s[sgprAlpha+2:sgprAlpha+2+1], -v[vgprValuC+14:vgprValuC+14+1], v[16:17]
v_fma_f64 v[vgprValuC+14:vgprValuC+14+1], s[sgprAlpha+0:sgprAlpha+0+1], v[vgprValuC+14:vgprValuC+14+1], v[18:19]

/* apply mask, calc new C and issue writes */
_buffer_store_b128 v[8:11], v6, s[sgprSrdD:sgprSrdD+3], 0, offen, offset:1024,  nt // store D
s_mul_i32 s60, s[sgprStrideD1J], 64                // scale StrideD *= numRows(4) * bpe
s_add_u32  s[sgprSrdD+0], s[sgprSrdD+0], s60       // incToNextRow: gra SRD += inc(lower)
s_addc_u32  s[sgprSrdD+1], s[sgprSrdD+1], 0        // incToNextRow: gra SRD += inc(upper)
_buffer_store_b128 v[12:15], v6, s[sgprSrdD:sgprSrdD+3], 0, offen, offset:0,  nt // store D
s_nop 0                                            // 1 wait state required when next inst writes vgprs held by previous dwordx4 store inst
/* optSingleColVgpr=1 optSharedColVgpr=0 optSGPRUsage=BufferLoad_Mask optSrdIncForRow=1 */
s_sleep 3 // optimization: sync and wait
s_barrier

/******************************************/
/* Global Write Alpha Batch #20 (d1,d0,vc1,vc0) = */
/*    (13,1,0,0:vw1); (13,2,0,0:vw1)      */
/******************************************/

/* calc coords, apply mask, and issue loads (if necessary) */
/* (d1,vc1,d0,vc0)=(13,0,1,0) */
/* (d1,vc1,d0,vc0)=(13,0,2,0) */
v_accvgpr_read_b32 v[vgprValuC+8], acc82 // copy acc to vreg[160]
v_accvgpr_read_b32 v[vgprValuC+9], acc83 // copy acc to vreg[161]
v_accvgpr_read_b32 v[vgprValuC+10], acc178 // copy acc to vreg[162]
v_accvgpr_read_b32 v[vgprValuC+11], acc179 // copy acc to vreg[163]
v_accvgpr_read_b32 v[vgprValuC+12], acc90 // copy acc to vreg[164]
v_accvgpr_read_b32 v[vgprValuC+13], acc91 // copy acc to vreg[165]
v_accvgpr_read_b32 v[vgprValuC+14], acc186 // copy acc to vreg[166]
v_accvgpr_read_b32 v[vgprValuC+15], acc187 // copy acc to vreg[167]
s_nop 1                                            // 2 wait states required before reading vgpr

/* rC *= alpha batchElements=[(13, 1, 0, 0), (13, 2, 0, 0)] */
v_mul_f64 v[16:17], s[sgprAlpha+0:sgprAlpha+0+1], v[vgprValuC+8:vgprValuC+8+1] // 
v_mul_f64 v[18:19], s[sgprAlpha+2:sgprAlpha+2+1], v[vgprValuC+8:vgprValuC+8+1] // 
v_fma_f64 v[vgprValuC+8:vgprValuC+8+1], s[sgprAlpha+2:sgprAlpha+2+1], -v[vgprValuC+10:vgprValuC+10+1], v[16:17]
v_fma_f64 v[vgprValuC+10:vgprValuC+10+1], s[sgprAlpha+0:sgprAlpha+0+1], v[vgprValuC+10:vgprValuC+10+1], v[18:19]
v_mul_f64 v[16:17], s[sgprAlpha+0:sgprAlpha+0+1], v[vgprValuC+12:vgprValuC+12+1] // 
v_mul_f64 v[18:19], s[sgprAlpha+2:sgprAlpha+2+1], v[vgprValuC+12:vgprValuC+12+1] // 
v_fma_f64 v[vgprValuC+12:vgprValuC+12+1], s[sgprAlpha+2:sgprAlpha+2+1], -v[vgprValuC+14:vgprValuC+14+1], v[16:17]
v_fma_f64 v[vgprValuC+14:vgprValuC+14+1], s[sgprAlpha+0:sgprAlpha+0+1], v[vgprValuC+14:vgprValuC+14+1], v[18:19]

/* apply mask, calc new C and issue writes */
_buffer_store_b128 v[8:11], v6, s[sgprSrdD:sgprSrdD+3], 0, offen, offset:512,  nt // store D
_buffer_store_b128 v[12:15], v6, s[sgprSrdD:sgprSrdD+3], 0, offen, offset:1024,  nt // store D
s_nop 0                                            // 1 wait state required when next inst writes vgprs held by previous dwordx4 store inst
/* optSingleColVgpr=1 optSharedColVgpr=0 optSGPRUsage=BufferLoad_Mask optSrdIncForRow=1 */
s_sleep 3 // optimization: sync and wait
s_barrier

/******************************************/
/* Global Write Alpha Batch #21 (d1,d0,vc1,vc0) = */
/*    (14,0,0,0:vw1); (14,1,0,0:vw1)      */
/******************************************/

/* calc coords, apply mask, and issue loads (if necessary) */
/* (d1,vc1,d0,vc0)=(14,0,0,0) */
/* (d1,vc1,d0,vc0)=(14,0,1,0) */
v_accvgpr_read_b32 v[vgprValuC+8], acc76 // copy acc to vreg[168]
v_accvgpr_read_b32 v[vgprValuC+9], acc77 // copy acc to vreg[169]
v_accvgpr_read_b32 v[vgprValuC+10], acc172 // copy acc to vreg[170]
v_accvgpr_read_b32 v[vgprValuC+11], acc173 // copy acc to vreg[171]
v_accvgpr_read_b32 v[vgprValuC+12], acc84 // copy acc to vreg[172]
v_accvgpr_read_b32 v[vgprValuC+13], acc85 // copy acc to vreg[173]
v_accvgpr_read_b32 v[vgprValuC+14], acc180 // copy acc to vreg[174]
v_accvgpr_read_b32 v[vgprValuC+15], acc181 // copy acc to vreg[175]
s_nop 1                                            // 2 wait states required before reading vgpr

/* rC *= alpha batchElements=[(14, 0, 0, 0), (14, 1, 0, 0)] */
v_mul_f64 v[16:17], s[sgprAlpha+0:sgprAlpha+0+1], v[vgprValuC+8:vgprValuC+8+1] // 
v_mul_f64 v[18:19], s[sgprAlpha+2:sgprAlpha+2+1], v[vgprValuC+8:vgprValuC+8+1] // 
v_fma_f64 v[vgprValuC+8:vgprValuC+8+1], s[sgprAlpha+2:sgprAlpha+2+1], -v[vgprValuC+10:vgprValuC+10+1], v[16:17]
v_fma_f64 v[vgprValuC+10:vgprValuC+10+1], s[sgprAlpha+0:sgprAlpha+0+1], v[vgprValuC+10:vgprValuC+10+1], v[18:19]
v_mul_f64 v[16:17], s[sgprAlpha+0:sgprAlpha+0+1], v[vgprValuC+12:vgprValuC+12+1] // 
v_mul_f64 v[18:19], s[sgprAlpha+2:sgprAlpha+2+1], v[vgprValuC+12:vgprValuC+12+1] // 
v_fma_f64 v[vgprValuC+12:vgprValuC+12+1], s[sgprAlpha+2:sgprAlpha+2+1], -v[vgprValuC+14:vgprValuC+14+1], v[16:17]
v_fma_f64 v[vgprValuC+14:vgprValuC+14+1], s[sgprAlpha+0:sgprAlpha+0+1], v[vgprValuC+14:vgprValuC+14+1], v[18:19]

/* apply mask, calc new C and issue writes */
s_mul_i32 s60, s[sgprStrideD1J], 64                // scale StrideD *= numRows(4) * bpe
s_add_u32  s[sgprSrdD+0], s[sgprSrdD+0], s60       // incToNextRow: gra SRD += inc(lower)
s_addc_u32  s[sgprSrdD+1], s[sgprSrdD+1], 0        // incToNextRow: gra SRD += inc(upper)
_buffer_store_b128 v[8:11], v6, s[sgprSrdD:sgprSrdD+3], 0, offen, offset:0,  nt // store D
_buffer_store_b128 v[12:15], v6, s[sgprSrdD:sgprSrdD+3], 0, offen, offset:512,  nt // store D
s_nop 0                                            // 1 wait state required when next inst writes vgprs held by previous dwordx4 store inst
/* optSingleColVgpr=1 optSharedColVgpr=0 optSGPRUsage=BufferLoad_Mask optSrdIncForRow=1 */
s_sleep 3 // optimization: sync and wait
s_barrier

/******************************************/
/* Global Write Alpha Batch #22 (d1,d0,vc1,vc0) = */
/*    (14,2,0,0:vw1); (15,0,0,0:vw1)      */
/******************************************/

/* calc coords, apply mask, and issue loads (if necessary) */
/* (d1,vc1,d0,vc0)=(14,0,2,0) */
/* (d1,vc1,d0,vc0)=(15,0,0,0) */
v_accvgpr_read_b32 v[vgprValuC+8], acc92 // copy acc to vreg[176]
v_accvgpr_read_b32 v[vgprValuC+9], acc93 // copy acc to vreg[177]
v_accvgpr_read_b32 v[vgprValuC+10], acc188 // copy acc to vreg[178]
v_accvgpr_read_b32 v[vgprValuC+11], acc189 // copy acc to vreg[179]
v_accvgpr_read_b32 v[vgprValuC+12], acc78 // copy acc to vreg[180]
v_accvgpr_read_b32 v[vgprValuC+13], acc79 // copy acc to vreg[181]
v_accvgpr_read_b32 v[vgprValuC+14], acc174 // copy acc to vreg[182]
v_accvgpr_read_b32 v[vgprValuC+15], acc175 // copy acc to vreg[183]
s_nop 1                                            // 2 wait states required before reading vgpr

/* rC *= alpha batchElements=[(14, 2, 0, 0), (15, 0, 0, 0)] */
v_mul_f64 v[16:17], s[sgprAlpha+0:sgprAlpha+0+1], v[vgprValuC+8:vgprValuC+8+1] // 
v_mul_f64 v[18:19], s[sgprAlpha+2:sgprAlpha+2+1], v[vgprValuC+8:vgprValuC+8+1] // 
v_fma_f64 v[vgprValuC+8:vgprValuC+8+1], s[sgprAlpha+2:sgprAlpha+2+1], -v[vgprValuC+10:vgprValuC+10+1], v[16:17]
v_fma_f64 v[vgprValuC+10:vgprValuC+10+1], s[sgprAlpha+0:sgprAlpha+0+1], v[vgprValuC+10:vgprValuC+10+1], v[18:19]
v_mul_f64 v[16:17], s[sgprAlpha+0:sgprAlpha+0+1], v[vgprValuC+12:vgprValuC+12+1] // 
v_mul_f64 v[18:19], s[sgprAlpha+2:sgprAlpha+2+1], v[vgprValuC+12:vgprValuC+12+1] // 
v_fma_f64 v[vgprValuC+12:vgprValuC+12+1], s[sgprAlpha+2:sgprAlpha+2+1], -v[vgprValuC+14:vgprValuC+14+1], v[16:17]
v_fma_f64 v[vgprValuC+14:vgprValuC+14+1], s[sgprAlpha+0:sgprAlpha+0+1], v[vgprValuC+14:vgprValuC+14+1], v[18:19]

/* apply mask, calc new C and issue writes */
_buffer_store_b128 v[8:11], v6, s[sgprSrdD:sgprSrdD+3], 0, offen, offset:1024,  nt // store D
s_mul_i32 s60, s[sgprStrideD1J], 64                // scale StrideD *= numRows(4) * bpe
s_add_u32  s[sgprSrdD+0], s[sgprSrdD+0], s60       // incToNextRow: gra SRD += inc(lower)
s_addc_u32  s[sgprSrdD+1], s[sgprSrdD+1], 0        // incToNextRow: gra SRD += inc(upper)
_buffer_store_b128 v[12:15], v6, s[sgprSrdD:sgprSrdD+3], 0, offen, offset:0,  nt // store D
s_nop 0                                            // 1 wait state required when next inst writes vgprs held by previous dwordx4 store inst
/* optSingleColVgpr=1 optSharedColVgpr=0 optSGPRUsage=BufferLoad_Mask optSrdIncForRow=1 */
s_sleep 3 // optimization: sync and wait
s_barrier

/******************************************/
/* Global Write Alpha Batch #23 (d1,d0,vc1,vc0) = */
/*    (15,1,0,0:vw1); (15,2,0,0:vw1)      */
/******************************************/

/* calc coords, apply mask, and issue loads (if necessary) */
/* (d1,vc1,d0,vc0)=(15,0,1,0) */
/* (d1,vc1,d0,vc0)=(15,0,2,0) */
v_accvgpr_read_b32 v[vgprValuC+8], acc86 // copy acc to vreg[184]
v_accvgpr_read_b32 v[vgprValuC+9], acc87 // copy acc to vreg[185]
v_accvgpr_read_b32 v[vgprValuC+10], acc182 // copy acc to vreg[186]
v_accvgpr_read_b32 v[vgprValuC+11], acc183 // copy acc to vreg[187]
v_accvgpr_read_b32 v[vgprValuC+12], acc94 // copy acc to vreg[188]
v_accvgpr_read_b32 v[vgprValuC+13], acc95 // copy acc to vreg[189]
v_accvgpr_read_b32 v[vgprValuC+14], acc190 // copy acc to vreg[190]
v_accvgpr_read_b32 v[vgprValuC+15], acc191 // copy acc to vreg[191]
s_nop 1                                            // 2 wait states required before reading vgpr

/* rC *= alpha batchElements=[(15, 1, 0, 0), (15, 2, 0, 0)] */
v_mul_f64 v[16:17], s[sgprAlpha+0:sgprAlpha+0+1], v[vgprValuC+8:vgprValuC+8+1] // 
v_mul_f64 v[18:19], s[sgprAlpha+2:sgprAlpha+2+1], v[vgprValuC+8:vgprValuC+8+1] // 
v_fma_f64 v[vgprValuC+8:vgprValuC+8+1], s[sgprAlpha+2:sgprAlpha+2+1], -v[vgprValuC+10:vgprValuC+10+1], v[16:17]
v_fma_f64 v[vgprValuC+10:vgprValuC+10+1], s[sgprAlpha+0:sgprAlpha+0+1], v[vgprValuC+10:vgprValuC+10+1], v[18:19]
v_mul_f64 v[16:17], s[sgprAlpha+0:sgprAlpha+0+1], v[vgprValuC+12:vgprValuC+12+1] // 
v_mul_f64 v[18:19], s[sgprAlpha+2:sgprAlpha+2+1], v[vgprValuC+12:vgprValuC+12+1] // 
v_fma_f64 v[vgprValuC+12:vgprValuC+12+1], s[sgprAlpha+2:sgprAlpha+2+1], -v[vgprValuC+14:vgprValuC+14+1], v[16:17]
v_fma_f64 v[vgprValuC+14:vgprValuC+14+1], s[sgprAlpha+0:sgprAlpha+0+1], v[vgprValuC+14:vgprValuC+14+1], v[18:19]

/* apply mask, calc new C and issue writes */
_buffer_store_b128 v[8:11], v6, s[sgprSrdD:sgprSrdD+3], 0, offen, offset:512,  nt // store D
_buffer_store_b128 v[12:15], v6, s[sgprSrdD:sgprSrdD+3], 0, offen, offset:1024,  nt // store D
s_nop 0                                            // 1 wait state required when next inst writes vgprs held by previous dwordx4 store inst
s_branch label_GW_End_44                           // jump to end
GW_B0_E1_36:

/* edge=1, allocate 6 sgpr. perBatchTmpS=4 perBatchMaskS=2 perElementMaskS=0 elementsPerBatch=2 */
/* optSingleColVgpr=0 optSharedColVgpr=0 optSGPRUsage=BufferLoad_Edge_Mask optSrdIncForRow=0 */
s_sleep 3 // optimization: sync and wait
s_barrier

/******************************************/
/* Global Write Alpha Edge Batch #0 (d1,d0,vc1,vc0) = */
/*    (0,0,0,0:vw1); (0,1,0,0:vw1)        */
/******************************************/

/* calc coords, apply mask, and issue loads (if necessary) */
/* (d1,vc1,d0,vc0)=(0,0,0,0) */
v_cmp_lt_u32 s[60:61], v0, s[sgprSizeI]            // coord0 < size0
v_cmp_lt_u32 s[64:65], v1, s[sgprSizeJ]            // coord1 < size1
s_and_b64 s[64:65], s[60:61], s[64:65]             // in0 && in1
_v_add_lshl_u32 v6, v3, v0, 0x4                    // scaleToBpe: accumulate d0 lower and *= bpe into Cin addr
v_cndmask_b32 v6, -1, v6, s[64:65]                 // LDD clip if OOB. offset
/* (d1,vc1,d0,vc0)=(0,0,1,0) */
_v_add_co_u32 v4, vcc, v0, 32                      // coord0.1: coord0 += d0*sg0*VW + vc0
v_cmp_lt_u32 s[60:61], v4, s[sgprSizeI]            // coord0 < size0
v_cmp_lt_u32 s[64:65], v1, s[sgprSizeJ]            // coord1 < size1
s_and_b64 s[64:65], s[60:61], s[64:65]             // in0 && in1
_v_add_lshl_u32 v7, v3, v4, 0x4                    // scaleToBpe: accumulate d0 lower and *= bpe into Cin addr
v_cndmask_b32 v7, -1, v7, s[64:65]                 // LDD clip if OOB. offset
v_accvgpr_read_b32 v[vgprValuC+8], acc0 // copy acc to vreg[0]
v_accvgpr_read_b32 v[vgprValuC+9], acc1 // copy acc to vreg[1]
v_accvgpr_read_b32 v[vgprValuC+10], acc96 // copy acc to vreg[2]
v_accvgpr_read_b32 v[vgprValuC+11], acc97 // copy acc to vreg[3]
v_accvgpr_read_b32 v[vgprValuC+12], acc8 // copy acc to vreg[4]
v_accvgpr_read_b32 v[vgprValuC+13], acc9 // copy acc to vreg[5]
v_accvgpr_read_b32 v[vgprValuC+14], acc104 // copy acc to vreg[6]
v_accvgpr_read_b32 v[vgprValuC+15], acc105 // copy acc to vreg[7]
s_nop 1                                            // 2 wait states required before reading vgpr

/* rC *= alpha batchElements=[(0, 0, 0, 0), (0, 1, 0, 0)] */
v_mul_f64 v[16:17], s[sgprAlpha+0:sgprAlpha+0+1], v[vgprValuC+8:vgprValuC+8+1] // 
v_mul_f64 v[18:19], s[sgprAlpha+2:sgprAlpha+2+1], v[vgprValuC+8:vgprValuC+8+1] // 
v_fma_f64 v[vgprValuC+8:vgprValuC+8+1], s[sgprAlpha+2:sgprAlpha+2+1], -v[vgprValuC+10:vgprValuC+10+1], v[16:17]
v_fma_f64 v[vgprValuC+10:vgprValuC+10+1], s[sgprAlpha+0:sgprAlpha+0+1], v[vgprValuC+10:vgprValuC+10+1], v[18:19]
v_mul_f64 v[16:17], s[sgprAlpha+0:sgprAlpha+0+1], v[vgprValuC+12:vgprValuC+12+1] // 
v_mul_f64 v[18:19], s[sgprAlpha+2:sgprAlpha+2+1], v[vgprValuC+12:vgprValuC+12+1] // 
v_fma_f64 v[vgprValuC+12:vgprValuC+12+1], s[sgprAlpha+2:sgprAlpha+2+1], -v[vgprValuC+14:vgprValuC+14+1], v[16:17]
v_fma_f64 v[vgprValuC+14:vgprValuC+14+1], s[sgprAlpha+0:sgprAlpha+0+1], v[vgprValuC+14:vgprValuC+14+1], v[18:19]

/* apply mask, calc new C and issue writes */
_buffer_store_b128 v[8:11], v6, s[sgprSrdD:sgprSrdD+3], 0, offen, offset:0,  nt // store D
_buffer_store_b128 v[12:15], v7, s[sgprSrdD:sgprSrdD+3], 0, offen, offset:0,  nt // store D
s_nop 0                                            // 1 wait state required when next inst writes vgprs held by previous dwordx4 store inst
/* optSingleColVgpr=0 optSharedColVgpr=0 optSGPRUsage=BufferLoad_Edge_Mask optSrdIncForRow=0 */
s_sleep 3 // optimization: sync and wait
s_barrier

/******************************************/
/* Global Write Alpha Edge Batch #1 (d1,d0,vc1,vc0) = */
/*    (0,2,0,0:vw1); (1,0,0,0:vw1)        */
/******************************************/

/* calc coords, apply mask, and issue loads (if necessary) */
/* (d1,vc1,d0,vc0)=(0,0,2,0) */
_v_add_co_u32 v4, vcc, v0, 64                      // coord0.1: coord0 += d0*sg0*VW + vc0
v_cmp_lt_u32 s[60:61], v4, s[sgprSizeI]            // coord0 < size0
v_cmp_lt_u32 s[64:65], v1, s[sgprSizeJ]            // coord1 < size1
s_and_b64 s[64:65], s[60:61], s[64:65]             // in0 && in1
_v_add_lshl_u32 v6, v3, v4, 0x4                    // scaleToBpe: accumulate d0 lower and *= bpe into Cin addr
v_cndmask_b32 v6, -1, v6, s[64:65]                 // LDD clip if OOB. offset
/* (d1,vc1,d0,vc0)=(1,0,0,0) */
_v_add_co_u32 v1, vcc, v1, 4                       // coord1.1: coord1Vgpr += d1*sg1*VW + vc1

/* Fix for UseInitialStridesCD, emitAddressSetupCode */
s_mul_i32 s60, s[sgprStrideC1J], 4                 // scale stride
_v_add_u32 v2, v2, s60                             // ROWINC- Move cinRowPtr to next row
s_mul_i32 s60, s[sgprStrideD1J], 4                 // scale stride
_v_add_u32 v3, v3, s60                             // Move coutRowPtr to next row
v_cmp_lt_u32 s[60:61], v0, s[sgprSizeI]            // coord0 < size0
v_cmp_lt_u32 s[64:65], v1, s[sgprSizeJ]            // coord1 < size1
s_and_b64 s[64:65], s[60:61], s[64:65]             // in0 && in1
_v_add_lshl_u32 v7, v3, v0, 0x4                    // scaleToBpe: accumulate d0 lower and *= bpe into Cin addr
v_cndmask_b32 v7, -1, v7, s[64:65]                 // LDD clip if OOB. offset
v_accvgpr_read_b32 v[vgprValuC+8], acc16 // copy acc to vreg[8]
v_accvgpr_read_b32 v[vgprValuC+9], acc17 // copy acc to vreg[9]
v_accvgpr_read_b32 v[vgprValuC+10], acc112 // copy acc to vreg[10]
v_accvgpr_read_b32 v[vgprValuC+11], acc113 // copy acc to vreg[11]
v_accvgpr_read_b32 v[vgprValuC+12], acc2 // copy acc to vreg[12]
v_accvgpr_read_b32 v[vgprValuC+13], acc3 // copy acc to vreg[13]
v_accvgpr_read_b32 v[vgprValuC+14], acc98 // copy acc to vreg[14]
v_accvgpr_read_b32 v[vgprValuC+15], acc99 // copy acc to vreg[15]
s_nop 1                                            // 2 wait states required before reading vgpr

/* rC *= alpha batchElements=[(0, 2, 0, 0), (1, 0, 0, 0)] */
v_mul_f64 v[16:17], s[sgprAlpha+0:sgprAlpha+0+1], v[vgprValuC+8:vgprValuC+8+1] // 
v_mul_f64 v[18:19], s[sgprAlpha+2:sgprAlpha+2+1], v[vgprValuC+8:vgprValuC+8+1] // 
v_fma_f64 v[vgprValuC+8:vgprValuC+8+1], s[sgprAlpha+2:sgprAlpha+2+1], -v[vgprValuC+10:vgprValuC+10+1], v[16:17]
v_fma_f64 v[vgprValuC+10:vgprValuC+10+1], s[sgprAlpha+0:sgprAlpha+0+1], v[vgprValuC+10:vgprValuC+10+1], v[18:19]
v_mul_f64 v[16:17], s[sgprAlpha+0:sgprAlpha+0+1], v[vgprValuC+12:vgprValuC+12+1] // 
v_mul_f64 v[18:19], s[sgprAlpha+2:sgprAlpha+2+1], v[vgprValuC+12:vgprValuC+12+1] // 
v_fma_f64 v[vgprValuC+12:vgprValuC+12+1], s[sgprAlpha+2:sgprAlpha+2+1], -v[vgprValuC+14:vgprValuC+14+1], v[16:17]
v_fma_f64 v[vgprValuC+14:vgprValuC+14+1], s[sgprAlpha+0:sgprAlpha+0+1], v[vgprValuC+14:vgprValuC+14+1], v[18:19]

/* apply mask, calc new C and issue writes */
_buffer_store_b128 v[8:11], v6, s[sgprSrdD:sgprSrdD+3], 0, offen, offset:0,  nt // store D
_buffer_store_b128 v[12:15], v7, s[sgprSrdD:sgprSrdD+3], 0, offen, offset:0,  nt // store D
s_nop 0                                            // 1 wait state required when next inst writes vgprs held by previous dwordx4 store inst
/* optSingleColVgpr=0 optSharedColVgpr=0 optSGPRUsage=BufferLoad_Edge_Mask optSrdIncForRow=0 */
s_sleep 3 // optimization: sync and wait
s_barrier

/******************************************/
/* Global Write Alpha Edge Batch #2 (d1,d0,vc1,vc0) = */
/*    (1,1,0,0:vw1); (1,2,0,0:vw1)        */
/******************************************/

/* calc coords, apply mask, and issue loads (if necessary) */
/* (d1,vc1,d0,vc0)=(1,0,1,0) */
_v_add_co_u32 v4, vcc, v0, 32                      // coord0.1: coord0 += d0*sg0*VW + vc0
v_cmp_lt_u32 s[60:61], v4, s[sgprSizeI]            // coord0 < size0
v_cmp_lt_u32 s[64:65], v1, s[sgprSizeJ]            // coord1 < size1
s_and_b64 s[64:65], s[60:61], s[64:65]             // in0 && in1
_v_add_lshl_u32 v6, v3, v4, 0x4                    // scaleToBpe: accumulate d0 lower and *= bpe into Cin addr
v_cndmask_b32 v6, -1, v6, s[64:65]                 // LDD clip if OOB. offset
/* (d1,vc1,d0,vc0)=(1,0,2,0) */
_v_add_co_u32 v4, vcc, v0, 64                      // coord0.1: coord0 += d0*sg0*VW + vc0
v_cmp_lt_u32 s[60:61], v4, s[sgprSizeI]            // coord0 < size0
v_cmp_lt_u32 s[64:65], v1, s[sgprSizeJ]            // coord1 < size1
s_and_b64 s[64:65], s[60:61], s[64:65]             // in0 && in1
_v_add_lshl_u32 v7, v3, v4, 0x4                    // scaleToBpe: accumulate d0 lower and *= bpe into Cin addr
v_cndmask_b32 v7, -1, v7, s[64:65]                 // LDD clip if OOB. offset
v_accvgpr_read_b32 v[vgprValuC+8], acc10 // copy acc to vreg[16]
v_accvgpr_read_b32 v[vgprValuC+9], acc11 // copy acc to vreg[17]
v_accvgpr_read_b32 v[vgprValuC+10], acc106 // copy acc to vreg[18]
v_accvgpr_read_b32 v[vgprValuC+11], acc107 // copy acc to vreg[19]
v_accvgpr_read_b32 v[vgprValuC+12], acc18 // copy acc to vreg[20]
v_accvgpr_read_b32 v[vgprValuC+13], acc19 // copy acc to vreg[21]
v_accvgpr_read_b32 v[vgprValuC+14], acc114 // copy acc to vreg[22]
v_accvgpr_read_b32 v[vgprValuC+15], acc115 // copy acc to vreg[23]
s_nop 1                                            // 2 wait states required before reading vgpr

/* rC *= alpha batchElements=[(1, 1, 0, 0), (1, 2, 0, 0)] */
v_mul_f64 v[16:17], s[sgprAlpha+0:sgprAlpha+0+1], v[vgprValuC+8:vgprValuC+8+1] // 
v_mul_f64 v[18:19], s[sgprAlpha+2:sgprAlpha+2+1], v[vgprValuC+8:vgprValuC+8+1] // 
v_fma_f64 v[vgprValuC+8:vgprValuC+8+1], s[sgprAlpha+2:sgprAlpha+2+1], -v[vgprValuC+10:vgprValuC+10+1], v[16:17]
v_fma_f64 v[vgprValuC+10:vgprValuC+10+1], s[sgprAlpha+0:sgprAlpha+0+1], v[vgprValuC+10:vgprValuC+10+1], v[18:19]
v_mul_f64 v[16:17], s[sgprAlpha+0:sgprAlpha+0+1], v[vgprValuC+12:vgprValuC+12+1] // 
v_mul_f64 v[18:19], s[sgprAlpha+2:sgprAlpha+2+1], v[vgprValuC+12:vgprValuC+12+1] // 
v_fma_f64 v[vgprValuC+12:vgprValuC+12+1], s[sgprAlpha+2:sgprAlpha+2+1], -v[vgprValuC+14:vgprValuC+14+1], v[16:17]
v_fma_f64 v[vgprValuC+14:vgprValuC+14+1], s[sgprAlpha+0:sgprAlpha+0+1], v[vgprValuC+14:vgprValuC+14+1], v[18:19]

/* apply mask, calc new C and issue writes */
_buffer_store_b128 v[8:11], v6, s[sgprSrdD:sgprSrdD+3], 0, offen, offset:0,  nt // store D
_buffer_store_b128 v[12:15], v7, s[sgprSrdD:sgprSrdD+3], 0, offen, offset:0,  nt // store D
s_nop 0                                            // 1 wait state required when next inst writes vgprs held by previous dwordx4 store inst
/* optSingleColVgpr=0 optSharedColVgpr=0 optSGPRUsage=BufferLoad_Edge_Mask optSrdIncForRow=0 */
s_sleep 3 // optimization: sync and wait
s_barrier

/******************************************/
/* Global Write Alpha Edge Batch #3 (d1,d0,vc1,vc0) = */
/*    (2,0,0,0:vw1); (2,1,0,0:vw1)        */
/******************************************/

/* calc coords, apply mask, and issue loads (if necessary) */
/* (d1,vc1,d0,vc0)=(2,0,0,0) */
_v_add_co_u32 v1, vcc, v1, 4                       // coord1.1: coord1Vgpr += d1*sg1*VW + vc1

/* Fix for UseInitialStridesCD, emitAddressSetupCode */
s_mul_i32 s60, s[sgprStrideC1J], 4                 // scale stride
_v_add_u32 v2, v2, s60                             // ROWINC- Move cinRowPtr to next row
s_mul_i32 s60, s[sgprStrideD1J], 4                 // scale stride
_v_add_u32 v3, v3, s60                             // Move coutRowPtr to next row
v_cmp_lt_u32 s[60:61], v0, s[sgprSizeI]            // coord0 < size0
v_cmp_lt_u32 s[64:65], v1, s[sgprSizeJ]            // coord1 < size1
s_and_b64 s[64:65], s[60:61], s[64:65]             // in0 && in1
_v_add_lshl_u32 v6, v3, v0, 0x4                    // scaleToBpe: accumulate d0 lower and *= bpe into Cin addr
v_cndmask_b32 v6, -1, v6, s[64:65]                 // LDD clip if OOB. offset
/* (d1,vc1,d0,vc0)=(2,0,1,0) */
_v_add_co_u32 v4, vcc, v0, 32                      // coord0.1: coord0 += d0*sg0*VW + vc0
v_cmp_lt_u32 s[60:61], v4, s[sgprSizeI]            // coord0 < size0
v_cmp_lt_u32 s[64:65], v1, s[sgprSizeJ]            // coord1 < size1
s_and_b64 s[64:65], s[60:61], s[64:65]             // in0 && in1
_v_add_lshl_u32 v7, v3, v4, 0x4                    // scaleToBpe: accumulate d0 lower and *= bpe into Cin addr
v_cndmask_b32 v7, -1, v7, s[64:65]                 // LDD clip if OOB. offset
v_accvgpr_read_b32 v[vgprValuC+8], acc4 // copy acc to vreg[24]
v_accvgpr_read_b32 v[vgprValuC+9], acc5 // copy acc to vreg[25]
v_accvgpr_read_b32 v[vgprValuC+10], acc100 // copy acc to vreg[26]
v_accvgpr_read_b32 v[vgprValuC+11], acc101 // copy acc to vreg[27]
v_accvgpr_read_b32 v[vgprValuC+12], acc12 // copy acc to vreg[28]
v_accvgpr_read_b32 v[vgprValuC+13], acc13 // copy acc to vreg[29]
v_accvgpr_read_b32 v[vgprValuC+14], acc108 // copy acc to vreg[30]
v_accvgpr_read_b32 v[vgprValuC+15], acc109 // copy acc to vreg[31]
s_nop 1                                            // 2 wait states required before reading vgpr

/* rC *= alpha batchElements=[(2, 0, 0, 0), (2, 1, 0, 0)] */
v_mul_f64 v[16:17], s[sgprAlpha+0:sgprAlpha+0+1], v[vgprValuC+8:vgprValuC+8+1] // 
v_mul_f64 v[18:19], s[sgprAlpha+2:sgprAlpha+2+1], v[vgprValuC+8:vgprValuC+8+1] // 
v_fma_f64 v[vgprValuC+8:vgprValuC+8+1], s[sgprAlpha+2:sgprAlpha+2+1], -v[vgprValuC+10:vgprValuC+10+1], v[16:17]
v_fma_f64 v[vgprValuC+10:vgprValuC+10+1], s[sgprAlpha+0:sgprAlpha+0+1], v[vgprValuC+10:vgprValuC+10+1], v[18:19]
v_mul_f64 v[16:17], s[sgprAlpha+0:sgprAlpha+0+1], v[vgprValuC+12:vgprValuC+12+1] // 
v_mul_f64 v[18:19], s[sgprAlpha+2:sgprAlpha+2+1], v[vgprValuC+12:vgprValuC+12+1] // 
v_fma_f64 v[vgprValuC+12:vgprValuC+12+1], s[sgprAlpha+2:sgprAlpha+2+1], -v[vgprValuC+14:vgprValuC+14+1], v[16:17]
v_fma_f64 v[vgprValuC+14:vgprValuC+14+1], s[sgprAlpha+0:sgprAlpha+0+1], v[vgprValuC+14:vgprValuC+14+1], v[18:19]

/* apply mask, calc new C and issue writes */
_buffer_store_b128 v[8:11], v6, s[sgprSrdD:sgprSrdD+3], 0, offen, offset:0,  nt // store D
_buffer_store_b128 v[12:15], v7, s[sgprSrdD:sgprSrdD+3], 0, offen, offset:0,  nt // store D
s_nop 0                                            // 1 wait state required when next inst writes vgprs held by previous dwordx4 store inst
/* optSingleColVgpr=0 optSharedColVgpr=0 optSGPRUsage=BufferLoad_Edge_Mask optSrdIncForRow=0 */
s_sleep 3 // optimization: sync and wait
s_barrier

/******************************************/
/* Global Write Alpha Edge Batch #4 (d1,d0,vc1,vc0) = */
/*    (2,2,0,0:vw1); (3,0,0,0:vw1)        */
/******************************************/

/* calc coords, apply mask, and issue loads (if necessary) */
/* (d1,vc1,d0,vc0)=(2,0,2,0) */
_v_add_co_u32 v4, vcc, v0, 64                      // coord0.1: coord0 += d0*sg0*VW + vc0
v_cmp_lt_u32 s[60:61], v4, s[sgprSizeI]            // coord0 < size0
v_cmp_lt_u32 s[64:65], v1, s[sgprSizeJ]            // coord1 < size1
s_and_b64 s[64:65], s[60:61], s[64:65]             // in0 && in1
_v_add_lshl_u32 v6, v3, v4, 0x4                    // scaleToBpe: accumulate d0 lower and *= bpe into Cin addr
v_cndmask_b32 v6, -1, v6, s[64:65]                 // LDD clip if OOB. offset
/* (d1,vc1,d0,vc0)=(3,0,0,0) */
_v_add_co_u32 v1, vcc, v1, 4                       // coord1.1: coord1Vgpr += d1*sg1*VW + vc1

/* Fix for UseInitialStridesCD, emitAddressSetupCode */
s_mul_i32 s60, s[sgprStrideC1J], 4                 // scale stride
_v_add_u32 v2, v2, s60                             // ROWINC- Move cinRowPtr to next row
s_mul_i32 s60, s[sgprStrideD1J], 4                 // scale stride
_v_add_u32 v3, v3, s60                             // Move coutRowPtr to next row
v_cmp_lt_u32 s[60:61], v0, s[sgprSizeI]            // coord0 < size0
v_cmp_lt_u32 s[64:65], v1, s[sgprSizeJ]            // coord1 < size1
s_and_b64 s[64:65], s[60:61], s[64:65]             // in0 && in1
_v_add_lshl_u32 v7, v3, v0, 0x4                    // scaleToBpe: accumulate d0 lower and *= bpe into Cin addr
v_cndmask_b32 v7, -1, v7, s[64:65]                 // LDD clip if OOB. offset
v_accvgpr_read_b32 v[vgprValuC+8], acc20 // copy acc to vreg[32]
v_accvgpr_read_b32 v[vgprValuC+9], acc21 // copy acc to vreg[33]
v_accvgpr_read_b32 v[vgprValuC+10], acc116 // copy acc to vreg[34]
v_accvgpr_read_b32 v[vgprValuC+11], acc117 // copy acc to vreg[35]
v_accvgpr_read_b32 v[vgprValuC+12], acc6 // copy acc to vreg[36]
v_accvgpr_read_b32 v[vgprValuC+13], acc7 // copy acc to vreg[37]
v_accvgpr_read_b32 v[vgprValuC+14], acc102 // copy acc to vreg[38]
v_accvgpr_read_b32 v[vgprValuC+15], acc103 // copy acc to vreg[39]
s_nop 1                                            // 2 wait states required before reading vgpr

/* rC *= alpha batchElements=[(2, 2, 0, 0), (3, 0, 0, 0)] */
v_mul_f64 v[16:17], s[sgprAlpha+0:sgprAlpha+0+1], v[vgprValuC+8:vgprValuC+8+1] // 
v_mul_f64 v[18:19], s[sgprAlpha+2:sgprAlpha+2+1], v[vgprValuC+8:vgprValuC+8+1] // 
v_fma_f64 v[vgprValuC+8:vgprValuC+8+1], s[sgprAlpha+2:sgprAlpha+2+1], -v[vgprValuC+10:vgprValuC+10+1], v[16:17]
v_fma_f64 v[vgprValuC+10:vgprValuC+10+1], s[sgprAlpha+0:sgprAlpha+0+1], v[vgprValuC+10:vgprValuC+10+1], v[18:19]
v_mul_f64 v[16:17], s[sgprAlpha+0:sgprAlpha+0+1], v[vgprValuC+12:vgprValuC+12+1] // 
v_mul_f64 v[18:19], s[sgprAlpha+2:sgprAlpha+2+1], v[vgprValuC+12:vgprValuC+12+1] // 
v_fma_f64 v[vgprValuC+12:vgprValuC+12+1], s[sgprAlpha+2:sgprAlpha+2+1], -v[vgprValuC+14:vgprValuC+14+1], v[16:17]
v_fma_f64 v[vgprValuC+14:vgprValuC+14+1], s[sgprAlpha+0:sgprAlpha+0+1], v[vgprValuC+14:vgprValuC+14+1], v[18:19]

/* apply mask, calc new C and issue writes */
_buffer_store_b128 v[8:11], v6, s[sgprSrdD:sgprSrdD+3], 0, offen, offset:0,  nt // store D
_buffer_store_b128 v[12:15], v7, s[sgprSrdD:sgprSrdD+3], 0, offen, offset:0,  nt // store D
s_nop 0                                            // 1 wait state required when next inst writes vgprs held by previous dwordx4 store inst
/* optSingleColVgpr=0 optSharedColVgpr=0 optSGPRUsage=BufferLoad_Edge_Mask optSrdIncForRow=0 */
s_sleep 3 // optimization: sync and wait
s_barrier

/******************************************/
/* Global Write Alpha Edge Batch #5 (d1,d0,vc1,vc0) = */
/*    (3,1,0,0:vw1); (3,2,0,0:vw1)        */
/******************************************/

/* calc coords, apply mask, and issue loads (if necessary) */
/* (d1,vc1,d0,vc0)=(3,0,1,0) */
_v_add_co_u32 v4, vcc, v0, 32                      // coord0.1: coord0 += d0*sg0*VW + vc0
v_cmp_lt_u32 s[60:61], v4, s[sgprSizeI]            // coord0 < size0
v_cmp_lt_u32 s[64:65], v1, s[sgprSizeJ]            // coord1 < size1
s_and_b64 s[64:65], s[60:61], s[64:65]             // in0 && in1
_v_add_lshl_u32 v6, v3, v4, 0x4                    // scaleToBpe: accumulate d0 lower and *= bpe into Cin addr
v_cndmask_b32 v6, -1, v6, s[64:65]                 // LDD clip if OOB. offset
/* (d1,vc1,d0,vc0)=(3,0,2,0) */
_v_add_co_u32 v4, vcc, v0, 64                      // coord0.1: coord0 += d0*sg0*VW + vc0
v_cmp_lt_u32 s[60:61], v4, s[sgprSizeI]            // coord0 < size0
v_cmp_lt_u32 s[64:65], v1, s[sgprSizeJ]            // coord1 < size1
s_and_b64 s[64:65], s[60:61], s[64:65]             // in0 && in1
_v_add_lshl_u32 v7, v3, v4, 0x4                    // scaleToBpe: accumulate d0 lower and *= bpe into Cin addr
v_cndmask_b32 v7, -1, v7, s[64:65]                 // LDD clip if OOB. offset
v_accvgpr_read_b32 v[vgprValuC+8], acc14 // copy acc to vreg[40]
v_accvgpr_read_b32 v[vgprValuC+9], acc15 // copy acc to vreg[41]
v_accvgpr_read_b32 v[vgprValuC+10], acc110 // copy acc to vreg[42]
v_accvgpr_read_b32 v[vgprValuC+11], acc111 // copy acc to vreg[43]
v_accvgpr_read_b32 v[vgprValuC+12], acc22 // copy acc to vreg[44]
v_accvgpr_read_b32 v[vgprValuC+13], acc23 // copy acc to vreg[45]
v_accvgpr_read_b32 v[vgprValuC+14], acc118 // copy acc to vreg[46]
v_accvgpr_read_b32 v[vgprValuC+15], acc119 // copy acc to vreg[47]
s_nop 1                                            // 2 wait states required before reading vgpr

/* rC *= alpha batchElements=[(3, 1, 0, 0), (3, 2, 0, 0)] */
v_mul_f64 v[16:17], s[sgprAlpha+0:sgprAlpha+0+1], v[vgprValuC+8:vgprValuC+8+1] // 
v_mul_f64 v[18:19], s[sgprAlpha+2:sgprAlpha+2+1], v[vgprValuC+8:vgprValuC+8+1] // 
v_fma_f64 v[vgprValuC+8:vgprValuC+8+1], s[sgprAlpha+2:sgprAlpha+2+1], -v[vgprValuC+10:vgprValuC+10+1], v[16:17]
v_fma_f64 v[vgprValuC+10:vgprValuC+10+1], s[sgprAlpha+0:sgprAlpha+0+1], v[vgprValuC+10:vgprValuC+10+1], v[18:19]
v_mul_f64 v[16:17], s[sgprAlpha+0:sgprAlpha+0+1], v[vgprValuC+12:vgprValuC+12+1] // 
v_mul_f64 v[18:19], s[sgprAlpha+2:sgprAlpha+2+1], v[vgprValuC+12:vgprValuC+12+1] // 
v_fma_f64 v[vgprValuC+12:vgprValuC+12+1], s[sgprAlpha+2:sgprAlpha+2+1], -v[vgprValuC+14:vgprValuC+14+1], v[16:17]
v_fma_f64 v[vgprValuC+14:vgprValuC+14+1], s[sgprAlpha+0:sgprAlpha+0+1], v[vgprValuC+14:vgprValuC+14+1], v[18:19]

/* apply mask, calc new C and issue writes */
_buffer_store_b128 v[8:11], v6, s[sgprSrdD:sgprSrdD+3], 0, offen, offset:0,  nt // store D
_buffer_store_b128 v[12:15], v7, s[sgprSrdD:sgprSrdD+3], 0, offen, offset:0,  nt // store D
s_nop 0                                            // 1 wait state required when next inst writes vgprs held by previous dwordx4 store inst
/* optSingleColVgpr=0 optSharedColVgpr=0 optSGPRUsage=BufferLoad_Edge_Mask optSrdIncForRow=0 */
s_sleep 3 // optimization: sync and wait
s_barrier

/******************************************/
/* Global Write Alpha Edge Batch #6 (d1,d0,vc1,vc0) = */
/*    (4,0,0,0:vw1); (4,1,0,0:vw1)        */
/******************************************/

/* calc coords, apply mask, and issue loads (if necessary) */
/* (d1,vc1,d0,vc0)=(4,0,0,0) */
_v_add_co_u32 v1, vcc, v1, 20                      // coord1.1: coord1Vgpr += d1*sg1*VW + vc1

/* Fix for UseInitialStridesCD, emitAddressSetupCode */
s_mul_i32 s60, s[sgprStrideC1J], 20                // scale stride
_v_add_u32 v2, v2, s60                             // ROWINC- Move cinRowPtr to next row
s_mul_i32 s60, s[sgprStrideD1J], 20                // scale stride
_v_add_u32 v3, v3, s60                             // Move coutRowPtr to next row
v_cmp_lt_u32 s[60:61], v0, s[sgprSizeI]            // coord0 < size0
v_cmp_lt_u32 s[64:65], v1, s[sgprSizeJ]            // coord1 < size1
s_and_b64 s[64:65], s[60:61], s[64:65]             // in0 && in1
_v_add_lshl_u32 v6, v3, v0, 0x4                    // scaleToBpe: accumulate d0 lower and *= bpe into Cin addr
v_cndmask_b32 v6, -1, v6, s[64:65]                 // LDD clip if OOB. offset
/* (d1,vc1,d0,vc0)=(4,0,1,0) */
_v_add_co_u32 v4, vcc, v0, 32                      // coord0.1: coord0 += d0*sg0*VW + vc0
v_cmp_lt_u32 s[60:61], v4, s[sgprSizeI]            // coord0 < size0
v_cmp_lt_u32 s[64:65], v1, s[sgprSizeJ]            // coord1 < size1
s_and_b64 s[64:65], s[60:61], s[64:65]             // in0 && in1
_v_add_lshl_u32 v7, v3, v4, 0x4                    // scaleToBpe: accumulate d0 lower and *= bpe into Cin addr
v_cndmask_b32 v7, -1, v7, s[64:65]                 // LDD clip if OOB. offset
v_accvgpr_read_b32 v[vgprValuC+8], acc24 // copy acc to vreg[48]
v_accvgpr_read_b32 v[vgprValuC+9], acc25 // copy acc to vreg[49]
v_accvgpr_read_b32 v[vgprValuC+10], acc120 // copy acc to vreg[50]
v_accvgpr_read_b32 v[vgprValuC+11], acc121 // copy acc to vreg[51]
v_accvgpr_read_b32 v[vgprValuC+12], acc32 // copy acc to vreg[52]
v_accvgpr_read_b32 v[vgprValuC+13], acc33 // copy acc to vreg[53]
v_accvgpr_read_b32 v[vgprValuC+14], acc128 // copy acc to vreg[54]
v_accvgpr_read_b32 v[vgprValuC+15], acc129 // copy acc to vreg[55]
s_nop 1                                            // 2 wait states required before reading vgpr

/* rC *= alpha batchElements=[(4, 0, 0, 0), (4, 1, 0, 0)] */
v_mul_f64 v[16:17], s[sgprAlpha+0:sgprAlpha+0+1], v[vgprValuC+8:vgprValuC+8+1] // 
v_mul_f64 v[18:19], s[sgprAlpha+2:sgprAlpha+2+1], v[vgprValuC+8:vgprValuC+8+1] // 
v_fma_f64 v[vgprValuC+8:vgprValuC+8+1], s[sgprAlpha+2:sgprAlpha+2+1], -v[vgprValuC+10:vgprValuC+10+1], v[16:17]
v_fma_f64 v[vgprValuC+10:vgprValuC+10+1], s[sgprAlpha+0:sgprAlpha+0+1], v[vgprValuC+10:vgprValuC+10+1], v[18:19]
v_mul_f64 v[16:17], s[sgprAlpha+0:sgprAlpha+0+1], v[vgprValuC+12:vgprValuC+12+1] // 
v_mul_f64 v[18:19], s[sgprAlpha+2:sgprAlpha+2+1], v[vgprValuC+12:vgprValuC+12+1] // 
v_fma_f64 v[vgprValuC+12:vgprValuC+12+1], s[sgprAlpha+2:sgprAlpha+2+1], -v[vgprValuC+14:vgprValuC+14+1], v[16:17]
v_fma_f64 v[vgprValuC+14:vgprValuC+14+1], s[sgprAlpha+0:sgprAlpha+0+1], v[vgprValuC+14:vgprValuC+14+1], v[18:19]

/* apply mask, calc new C and issue writes */
_buffer_store_b128 v[8:11], v6, s[sgprSrdD:sgprSrdD+3], 0, offen, offset:0,  nt // store D
_buffer_store_b128 v[12:15], v7, s[sgprSrdD:sgprSrdD+3], 0, offen, offset:0,  nt // store D
s_nop 0                                            // 1 wait state required when next inst writes vgprs held by previous dwordx4 store inst
/* optSingleColVgpr=0 optSharedColVgpr=0 optSGPRUsage=BufferLoad_Edge_Mask optSrdIncForRow=0 */
s_sleep 3 // optimization: sync and wait
s_barrier

/******************************************/
/* Global Write Alpha Edge Batch #7 (d1,d0,vc1,vc0) = */
/*    (4,2,0,0:vw1); (5,0,0,0:vw1)        */
/******************************************/

/* calc coords, apply mask, and issue loads (if necessary) */
/* (d1,vc1,d0,vc0)=(4,0,2,0) */
_v_add_co_u32 v4, vcc, v0, 64                      // coord0.1: coord0 += d0*sg0*VW + vc0
v_cmp_lt_u32 s[60:61], v4, s[sgprSizeI]            // coord0 < size0
v_cmp_lt_u32 s[64:65], v1, s[sgprSizeJ]            // coord1 < size1
s_and_b64 s[64:65], s[60:61], s[64:65]             // in0 && in1
_v_add_lshl_u32 v6, v3, v4, 0x4                    // scaleToBpe: accumulate d0 lower and *= bpe into Cin addr
v_cndmask_b32 v6, -1, v6, s[64:65]                 // LDD clip if OOB. offset
/* (d1,vc1,d0,vc0)=(5,0,0,0) */
_v_add_co_u32 v1, vcc, v1, 4                       // coord1.1: coord1Vgpr += d1*sg1*VW + vc1

/* Fix for UseInitialStridesCD, emitAddressSetupCode */
s_mul_i32 s60, s[sgprStrideC1J], 4                 // scale stride
_v_add_u32 v2, v2, s60                             // ROWINC- Move cinRowPtr to next row
s_mul_i32 s60, s[sgprStrideD1J], 4                 // scale stride
_v_add_u32 v3, v3, s60                             // Move coutRowPtr to next row
v_cmp_lt_u32 s[60:61], v0, s[sgprSizeI]            // coord0 < size0
v_cmp_lt_u32 s[64:65], v1, s[sgprSizeJ]            // coord1 < size1
s_and_b64 s[64:65], s[60:61], s[64:65]             // in0 && in1
_v_add_lshl_u32 v7, v3, v0, 0x4                    // scaleToBpe: accumulate d0 lower and *= bpe into Cin addr
v_cndmask_b32 v7, -1, v7, s[64:65]                 // LDD clip if OOB. offset
v_accvgpr_read_b32 v[vgprValuC+8], acc40 // copy acc to vreg[56]
v_accvgpr_read_b32 v[vgprValuC+9], acc41 // copy acc to vreg[57]
v_accvgpr_read_b32 v[vgprValuC+10], acc136 // copy acc to vreg[58]
v_accvgpr_read_b32 v[vgprValuC+11], acc137 // copy acc to vreg[59]
v_accvgpr_read_b32 v[vgprValuC+12], acc26 // copy acc to vreg[60]
v_accvgpr_read_b32 v[vgprValuC+13], acc27 // copy acc to vreg[61]
v_accvgpr_read_b32 v[vgprValuC+14], acc122 // copy acc to vreg[62]
v_accvgpr_read_b32 v[vgprValuC+15], acc123 // copy acc to vreg[63]
s_nop 1                                            // 2 wait states required before reading vgpr

/* rC *= alpha batchElements=[(4, 2, 0, 0), (5, 0, 0, 0)] */
v_mul_f64 v[16:17], s[sgprAlpha+0:sgprAlpha+0+1], v[vgprValuC+8:vgprValuC+8+1] // 
v_mul_f64 v[18:19], s[sgprAlpha+2:sgprAlpha+2+1], v[vgprValuC+8:vgprValuC+8+1] // 
v_fma_f64 v[vgprValuC+8:vgprValuC+8+1], s[sgprAlpha+2:sgprAlpha+2+1], -v[vgprValuC+10:vgprValuC+10+1], v[16:17]
v_fma_f64 v[vgprValuC+10:vgprValuC+10+1], s[sgprAlpha+0:sgprAlpha+0+1], v[vgprValuC+10:vgprValuC+10+1], v[18:19]
v_mul_f64 v[16:17], s[sgprAlpha+0:sgprAlpha+0+1], v[vgprValuC+12:vgprValuC+12+1] // 
v_mul_f64 v[18:19], s[sgprAlpha+2:sgprAlpha+2+1], v[vgprValuC+12:vgprValuC+12+1] // 
v_fma_f64 v[vgprValuC+12:vgprValuC+12+1], s[sgprAlpha+2:sgprAlpha+2+1], -v[vgprValuC+14:vgprValuC+14+1], v[16:17]
v_fma_f64 v[vgprValuC+14:vgprValuC+14+1], s[sgprAlpha+0:sgprAlpha+0+1], v[vgprValuC+14:vgprValuC+14+1], v[18:19]

/* apply mask, calc new C and issue writes */
_buffer_store_b128 v[8:11], v6, s[sgprSrdD:sgprSrdD+3], 0, offen, offset:0,  nt // store D
_buffer_store_b128 v[12:15], v7, s[sgprSrdD:sgprSrdD+3], 0, offen, offset:0,  nt // store D
s_nop 0                                            // 1 wait state required when next inst writes vgprs held by previous dwordx4 store inst
/* optSingleColVgpr=0 optSharedColVgpr=0 optSGPRUsage=BufferLoad_Edge_Mask optSrdIncForRow=0 */
s_sleep 3 // optimization: sync and wait
s_barrier

/******************************************/
/* Global Write Alpha Edge Batch #8 (d1,d0,vc1,vc0) = */
/*    (5,1,0,0:vw1); (5,2,0,0:vw1)        */
/******************************************/

/* calc coords, apply mask, and issue loads (if necessary) */
/* (d1,vc1,d0,vc0)=(5,0,1,0) */
_v_add_co_u32 v4, vcc, v0, 32                      // coord0.1: coord0 += d0*sg0*VW + vc0
v_cmp_lt_u32 s[60:61], v4, s[sgprSizeI]            // coord0 < size0
v_cmp_lt_u32 s[64:65], v1, s[sgprSizeJ]            // coord1 < size1
s_and_b64 s[64:65], s[60:61], s[64:65]             // in0 && in1
_v_add_lshl_u32 v6, v3, v4, 0x4                    // scaleToBpe: accumulate d0 lower and *= bpe into Cin addr
v_cndmask_b32 v6, -1, v6, s[64:65]                 // LDD clip if OOB. offset
/* (d1,vc1,d0,vc0)=(5,0,2,0) */
_v_add_co_u32 v4, vcc, v0, 64                      // coord0.1: coord0 += d0*sg0*VW + vc0
v_cmp_lt_u32 s[60:61], v4, s[sgprSizeI]            // coord0 < size0
v_cmp_lt_u32 s[64:65], v1, s[sgprSizeJ]            // coord1 < size1
s_and_b64 s[64:65], s[60:61], s[64:65]             // in0 && in1
_v_add_lshl_u32 v7, v3, v4, 0x4                    // scaleToBpe: accumulate d0 lower and *= bpe into Cin addr
v_cndmask_b32 v7, -1, v7, s[64:65]                 // LDD clip if OOB. offset
v_accvgpr_read_b32 v[vgprValuC+8], acc34 // copy acc to vreg[64]
v_accvgpr_read_b32 v[vgprValuC+9], acc35 // copy acc to vreg[65]
v_accvgpr_read_b32 v[vgprValuC+10], acc130 // copy acc to vreg[66]
v_accvgpr_read_b32 v[vgprValuC+11], acc131 // copy acc to vreg[67]
v_accvgpr_read_b32 v[vgprValuC+12], acc42 // copy acc to vreg[68]
v_accvgpr_read_b32 v[vgprValuC+13], acc43 // copy acc to vreg[69]
v_accvgpr_read_b32 v[vgprValuC+14], acc138 // copy acc to vreg[70]
v_accvgpr_read_b32 v[vgprValuC+15], acc139 // copy acc to vreg[71]
s_nop 1                                            // 2 wait states required before reading vgpr

/* rC *= alpha batchElements=[(5, 1, 0, 0), (5, 2, 0, 0)] */
v_mul_f64 v[16:17], s[sgprAlpha+0:sgprAlpha+0+1], v[vgprValuC+8:vgprValuC+8+1] // 
v_mul_f64 v[18:19], s[sgprAlpha+2:sgprAlpha+2+1], v[vgprValuC+8:vgprValuC+8+1] // 
v_fma_f64 v[vgprValuC+8:vgprValuC+8+1], s[sgprAlpha+2:sgprAlpha+2+1], -v[vgprValuC+10:vgprValuC+10+1], v[16:17]
v_fma_f64 v[vgprValuC+10:vgprValuC+10+1], s[sgprAlpha+0:sgprAlpha+0+1], v[vgprValuC+10:vgprValuC+10+1], v[18:19]
v_mul_f64 v[16:17], s[sgprAlpha+0:sgprAlpha+0+1], v[vgprValuC+12:vgprValuC+12+1] // 
v_mul_f64 v[18:19], s[sgprAlpha+2:sgprAlpha+2+1], v[vgprValuC+12:vgprValuC+12+1] // 
v_fma_f64 v[vgprValuC+12:vgprValuC+12+1], s[sgprAlpha+2:sgprAlpha+2+1], -v[vgprValuC+14:vgprValuC+14+1], v[16:17]
v_fma_f64 v[vgprValuC+14:vgprValuC+14+1], s[sgprAlpha+0:sgprAlpha+0+1], v[vgprValuC+14:vgprValuC+14+1], v[18:19]

/* apply mask, calc new C and issue writes */
_buffer_store_b128 v[8:11], v6, s[sgprSrdD:sgprSrdD+3], 0, offen, offset:0,  nt // store D
_buffer_store_b128 v[12:15], v7, s[sgprSrdD:sgprSrdD+3], 0, offen, offset:0,  nt // store D
s_nop 0                                            // 1 wait state required when next inst writes vgprs held by previous dwordx4 store inst
/* optSingleColVgpr=0 optSharedColVgpr=0 optSGPRUsage=BufferLoad_Edge_Mask optSrdIncForRow=0 */
s_sleep 3 // optimization: sync and wait
s_barrier

/******************************************/
/* Global Write Alpha Edge Batch #9 (d1,d0,vc1,vc0) = */
/*    (6,0,0,0:vw1); (6,1,0,0:vw1)        */
/******************************************/

/* calc coords, apply mask, and issue loads (if necessary) */
/* (d1,vc1,d0,vc0)=(6,0,0,0) */
_v_add_co_u32 v1, vcc, v1, 4                       // coord1.1: coord1Vgpr += d1*sg1*VW + vc1

/* Fix for UseInitialStridesCD, emitAddressSetupCode */
s_mul_i32 s60, s[sgprStrideC1J], 4                 // scale stride
_v_add_u32 v2, v2, s60                             // ROWINC- Move cinRowPtr to next row
s_mul_i32 s60, s[sgprStrideD1J], 4                 // scale stride
_v_add_u32 v3, v3, s60                             // Move coutRowPtr to next row
v_cmp_lt_u32 s[60:61], v0, s[sgprSizeI]            // coord0 < size0
v_cmp_lt_u32 s[64:65], v1, s[sgprSizeJ]            // coord1 < size1
s_and_b64 s[64:65], s[60:61], s[64:65]             // in0 && in1
_v_add_lshl_u32 v6, v3, v0, 0x4                    // scaleToBpe: accumulate d0 lower and *= bpe into Cin addr
v_cndmask_b32 v6, -1, v6, s[64:65]                 // LDD clip if OOB. offset
/* (d1,vc1,d0,vc0)=(6,0,1,0) */
_v_add_co_u32 v4, vcc, v0, 32                      // coord0.1: coord0 += d0*sg0*VW + vc0
v_cmp_lt_u32 s[60:61], v4, s[sgprSizeI]            // coord0 < size0
v_cmp_lt_u32 s[64:65], v1, s[sgprSizeJ]            // coord1 < size1
s_and_b64 s[64:65], s[60:61], s[64:65]             // in0 && in1
_v_add_lshl_u32 v7, v3, v4, 0x4                    // scaleToBpe: accumulate d0 lower and *= bpe into Cin addr
v_cndmask_b32 v7, -1, v7, s[64:65]                 // LDD clip if OOB. offset
v_accvgpr_read_b32 v[vgprValuC+8], acc28 // copy acc to vreg[72]
v_accvgpr_read_b32 v[vgprValuC+9], acc29 // copy acc to vreg[73]
v_accvgpr_read_b32 v[vgprValuC+10], acc124 // copy acc to vreg[74]
v_accvgpr_read_b32 v[vgprValuC+11], acc125 // copy acc to vreg[75]
v_accvgpr_read_b32 v[vgprValuC+12], acc36 // copy acc to vreg[76]
v_accvgpr_read_b32 v[vgprValuC+13], acc37 // copy acc to vreg[77]
v_accvgpr_read_b32 v[vgprValuC+14], acc132 // copy acc to vreg[78]
v_accvgpr_read_b32 v[vgprValuC+15], acc133 // copy acc to vreg[79]
s_nop 1                                            // 2 wait states required before reading vgpr

/* rC *= alpha batchElements=[(6, 0, 0, 0), (6, 1, 0, 0)] */
v_mul_f64 v[16:17], s[sgprAlpha+0:sgprAlpha+0+1], v[vgprValuC+8:vgprValuC+8+1] // 
v_mul_f64 v[18:19], s[sgprAlpha+2:sgprAlpha+2+1], v[vgprValuC+8:vgprValuC+8+1] // 
v_fma_f64 v[vgprValuC+8:vgprValuC+8+1], s[sgprAlpha+2:sgprAlpha+2+1], -v[vgprValuC+10:vgprValuC+10+1], v[16:17]
v_fma_f64 v[vgprValuC+10:vgprValuC+10+1], s[sgprAlpha+0:sgprAlpha+0+1], v[vgprValuC+10:vgprValuC+10+1], v[18:19]
v_mul_f64 v[16:17], s[sgprAlpha+0:sgprAlpha+0+1], v[vgprValuC+12:vgprValuC+12+1] // 
v_mul_f64 v[18:19], s[sgprAlpha+2:sgprAlpha+2+1], v[vgprValuC+12:vgprValuC+12+1] // 
v_fma_f64 v[vgprValuC+12:vgprValuC+12+1], s[sgprAlpha+2:sgprAlpha+2+1], -v[vgprValuC+14:vgprValuC+14+1], v[16:17]
v_fma_f64 v[vgprValuC+14:vgprValuC+14+1], s[sgprAlpha+0:sgprAlpha+0+1], v[vgprValuC+14:vgprValuC+14+1], v[18:19]

/* apply mask, calc new C and issue writes */
_buffer_store_b128 v[8:11], v6, s[sgprSrdD:sgprSrdD+3], 0, offen, offset:0,  nt // store D
_buffer_store_b128 v[12:15], v7, s[sgprSrdD:sgprSrdD+3], 0, offen, offset:0,  nt // store D
s_nop 0                                            // 1 wait state required when next inst writes vgprs held by previous dwordx4 store inst
/* optSingleColVgpr=0 optSharedColVgpr=0 optSGPRUsage=BufferLoad_Edge_Mask optSrdIncForRow=0 */
s_sleep 3 // optimization: sync and wait
s_barrier

/******************************************/
/* Global Write Alpha Edge Batch #10 (d1,d0,vc1,vc0) = */
/*    (6,2,0,0:vw1); (7,0,0,0:vw1)        */
/******************************************/

/* calc coords, apply mask, and issue loads (if necessary) */
/* (d1,vc1,d0,vc0)=(6,0,2,0) */
_v_add_co_u32 v4, vcc, v0, 64                      // coord0.1: coord0 += d0*sg0*VW + vc0
v_cmp_lt_u32 s[60:61], v4, s[sgprSizeI]            // coord0 < size0
v_cmp_lt_u32 s[64:65], v1, s[sgprSizeJ]            // coord1 < size1
s_and_b64 s[64:65], s[60:61], s[64:65]             // in0 && in1
_v_add_lshl_u32 v6, v3, v4, 0x4                    // scaleToBpe: accumulate d0 lower and *= bpe into Cin addr
v_cndmask_b32 v6, -1, v6, s[64:65]                 // LDD clip if OOB. offset
/* (d1,vc1,d0,vc0)=(7,0,0,0) */
_v_add_co_u32 v1, vcc, v1, 4                       // coord1.1: coord1Vgpr += d1*sg1*VW + vc1

/* Fix for UseInitialStridesCD, emitAddressSetupCode */
s_mul_i32 s60, s[sgprStrideC1J], 4                 // scale stride
_v_add_u32 v2, v2, s60                             // ROWINC- Move cinRowPtr to next row
s_mul_i32 s60, s[sgprStrideD1J], 4                 // scale stride
_v_add_u32 v3, v3, s60                             // Move coutRowPtr to next row
v_cmp_lt_u32 s[60:61], v0, s[sgprSizeI]            // coord0 < size0
v_cmp_lt_u32 s[64:65], v1, s[sgprSizeJ]            // coord1 < size1
s_and_b64 s[64:65], s[60:61], s[64:65]             // in0 && in1
_v_add_lshl_u32 v7, v3, v0, 0x4                    // scaleToBpe: accumulate d0 lower and *= bpe into Cin addr
v_cndmask_b32 v7, -1, v7, s[64:65]                 // LDD clip if OOB. offset
v_accvgpr_read_b32 v[vgprValuC+8], acc44 // copy acc to vreg[80]
v_accvgpr_read_b32 v[vgprValuC+9], acc45 // copy acc to vreg[81]
v_accvgpr_read_b32 v[vgprValuC+10], acc140 // copy acc to vreg[82]
v_accvgpr_read_b32 v[vgprValuC+11], acc141 // copy acc to vreg[83]
v_accvgpr_read_b32 v[vgprValuC+12], acc30 // copy acc to vreg[84]
v_accvgpr_read_b32 v[vgprValuC+13], acc31 // copy acc to vreg[85]
v_accvgpr_read_b32 v[vgprValuC+14], acc126 // copy acc to vreg[86]
v_accvgpr_read_b32 v[vgprValuC+15], acc127 // copy acc to vreg[87]
s_nop 1                                            // 2 wait states required before reading vgpr

/* rC *= alpha batchElements=[(6, 2, 0, 0), (7, 0, 0, 0)] */
v_mul_f64 v[16:17], s[sgprAlpha+0:sgprAlpha+0+1], v[vgprValuC+8:vgprValuC+8+1] // 
v_mul_f64 v[18:19], s[sgprAlpha+2:sgprAlpha+2+1], v[vgprValuC+8:vgprValuC+8+1] // 
v_fma_f64 v[vgprValuC+8:vgprValuC+8+1], s[sgprAlpha+2:sgprAlpha+2+1], -v[vgprValuC+10:vgprValuC+10+1], v[16:17]
v_fma_f64 v[vgprValuC+10:vgprValuC+10+1], s[sgprAlpha+0:sgprAlpha+0+1], v[vgprValuC+10:vgprValuC+10+1], v[18:19]
v_mul_f64 v[16:17], s[sgprAlpha+0:sgprAlpha+0+1], v[vgprValuC+12:vgprValuC+12+1] // 
v_mul_f64 v[18:19], s[sgprAlpha+2:sgprAlpha+2+1], v[vgprValuC+12:vgprValuC+12+1] // 
v_fma_f64 v[vgprValuC+12:vgprValuC+12+1], s[sgprAlpha+2:sgprAlpha+2+1], -v[vgprValuC+14:vgprValuC+14+1], v[16:17]
v_fma_f64 v[vgprValuC+14:vgprValuC+14+1], s[sgprAlpha+0:sgprAlpha+0+1], v[vgprValuC+14:vgprValuC+14+1], v[18:19]

/* apply mask, calc new C and issue writes */
_buffer_store_b128 v[8:11], v6, s[sgprSrdD:sgprSrdD+3], 0, offen, offset:0,  nt // store D
_buffer_store_b128 v[12:15], v7, s[sgprSrdD:sgprSrdD+3], 0, offen, offset:0,  nt // store D
s_nop 0                                            // 1 wait state required when next inst writes vgprs held by previous dwordx4 store inst
/* optSingleColVgpr=0 optSharedColVgpr=0 optSGPRUsage=BufferLoad_Edge_Mask optSrdIncForRow=0 */
s_sleep 3 // optimization: sync and wait
s_barrier

/******************************************/
/* Global Write Alpha Edge Batch #11 (d1,d0,vc1,vc0) = */
/*    (7,1,0,0:vw1); (7,2,0,0:vw1)        */
/******************************************/

/* calc coords, apply mask, and issue loads (if necessary) */
/* (d1,vc1,d0,vc0)=(7,0,1,0) */
_v_add_co_u32 v4, vcc, v0, 32                      // coord0.1: coord0 += d0*sg0*VW + vc0
v_cmp_lt_u32 s[60:61], v4, s[sgprSizeI]            // coord0 < size0
v_cmp_lt_u32 s[64:65], v1, s[sgprSizeJ]            // coord1 < size1
s_and_b64 s[64:65], s[60:61], s[64:65]             // in0 && in1
_v_add_lshl_u32 v6, v3, v4, 0x4                    // scaleToBpe: accumulate d0 lower and *= bpe into Cin addr
v_cndmask_b32 v6, -1, v6, s[64:65]                 // LDD clip if OOB. offset
/* (d1,vc1,d0,vc0)=(7,0,2,0) */
_v_add_co_u32 v4, vcc, v0, 64                      // coord0.1: coord0 += d0*sg0*VW + vc0
v_cmp_lt_u32 s[60:61], v4, s[sgprSizeI]            // coord0 < size0
v_cmp_lt_u32 s[64:65], v1, s[sgprSizeJ]            // coord1 < size1
s_and_b64 s[64:65], s[60:61], s[64:65]             // in0 && in1
_v_add_lshl_u32 v7, v3, v4, 0x4                    // scaleToBpe: accumulate d0 lower and *= bpe into Cin addr
v_cndmask_b32 v7, -1, v7, s[64:65]                 // LDD clip if OOB. offset
v_accvgpr_read_b32 v[vgprValuC+8], acc38 // copy acc to vreg[88]
v_accvgpr_read_b32 v[vgprValuC+9], acc39 // copy acc to vreg[89]
v_accvgpr_read_b32 v[vgprValuC+10], acc134 // copy acc to vreg[90]
v_accvgpr_read_b32 v[vgprValuC+11], acc135 // copy acc to vreg[91]
v_accvgpr_read_b32 v[vgprValuC+12], acc46 // copy acc to vreg[92]
v_accvgpr_read_b32 v[vgprValuC+13], acc47 // copy acc to vreg[93]
v_accvgpr_read_b32 v[vgprValuC+14], acc142 // copy acc to vreg[94]
v_accvgpr_read_b32 v[vgprValuC+15], acc143 // copy acc to vreg[95]
s_nop 1                                            // 2 wait states required before reading vgpr

/* rC *= alpha batchElements=[(7, 1, 0, 0), (7, 2, 0, 0)] */
v_mul_f64 v[16:17], s[sgprAlpha+0:sgprAlpha+0+1], v[vgprValuC+8:vgprValuC+8+1] // 
v_mul_f64 v[18:19], s[sgprAlpha+2:sgprAlpha+2+1], v[vgprValuC+8:vgprValuC+8+1] // 
v_fma_f64 v[vgprValuC+8:vgprValuC+8+1], s[sgprAlpha+2:sgprAlpha+2+1], -v[vgprValuC+10:vgprValuC+10+1], v[16:17]
v_fma_f64 v[vgprValuC+10:vgprValuC+10+1], s[sgprAlpha+0:sgprAlpha+0+1], v[vgprValuC+10:vgprValuC+10+1], v[18:19]
v_mul_f64 v[16:17], s[sgprAlpha+0:sgprAlpha+0+1], v[vgprValuC+12:vgprValuC+12+1] // 
v_mul_f64 v[18:19], s[sgprAlpha+2:sgprAlpha+2+1], v[vgprValuC+12:vgprValuC+12+1] // 
v_fma_f64 v[vgprValuC+12:vgprValuC+12+1], s[sgprAlpha+2:sgprAlpha+2+1], -v[vgprValuC+14:vgprValuC+14+1], v[16:17]
v_fma_f64 v[vgprValuC+14:vgprValuC+14+1], s[sgprAlpha+0:sgprAlpha+0+1], v[vgprValuC+14:vgprValuC+14+1], v[18:19]

/* apply mask, calc new C and issue writes */
_buffer_store_b128 v[8:11], v6, s[sgprSrdD:sgprSrdD+3], 0, offen, offset:0,  nt // store D
_buffer_store_b128 v[12:15], v7, s[sgprSrdD:sgprSrdD+3], 0, offen, offset:0,  nt // store D
s_nop 0                                            // 1 wait state required when next inst writes vgprs held by previous dwordx4 store inst
/* optSingleColVgpr=0 optSharedColVgpr=0 optSGPRUsage=BufferLoad_Edge_Mask optSrdIncForRow=0 */
s_sleep 3 // optimization: sync and wait
s_barrier

/******************************************/
/* Global Write Alpha Edge Batch #12 (d1,d0,vc1,vc0) = */
/*    (8,0,0,0:vw1); (8,1,0,0:vw1)        */
/******************************************/

/* calc coords, apply mask, and issue loads (if necessary) */
/* (d1,vc1,d0,vc0)=(8,0,0,0) */
_v_add_co_u32 v1, vcc, v1, 20                      // coord1.1: coord1Vgpr += d1*sg1*VW + vc1

/* Fix for UseInitialStridesCD, emitAddressSetupCode */
s_mul_i32 s60, s[sgprStrideC1J], 20                // scale stride
_v_add_u32 v2, v2, s60                             // ROWINC- Move cinRowPtr to next row
s_mul_i32 s60, s[sgprStrideD1J], 20                // scale stride
_v_add_u32 v3, v3, s60                             // Move coutRowPtr to next row
v_cmp_lt_u32 s[60:61], v0, s[sgprSizeI]            // coord0 < size0
v_cmp_lt_u32 s[64:65], v1, s[sgprSizeJ]            // coord1 < size1
s_and_b64 s[64:65], s[60:61], s[64:65]             // in0 && in1
_v_add_lshl_u32 v6, v3, v0, 0x4                    // scaleToBpe: accumulate d0 lower and *= bpe into Cin addr
v_cndmask_b32 v6, -1, v6, s[64:65]                 // LDD clip if OOB. offset
/* (d1,vc1,d0,vc0)=(8,0,1,0) */
_v_add_co_u32 v4, vcc, v0, 32                      // coord0.1: coord0 += d0*sg0*VW + vc0
v_cmp_lt_u32 s[60:61], v4, s[sgprSizeI]            // coord0 < size0
v_cmp_lt_u32 s[64:65], v1, s[sgprSizeJ]            // coord1 < size1
s_and_b64 s[64:65], s[60:61], s[64:65]             // in0 && in1
_v_add_lshl_u32 v7, v3, v4, 0x4                    // scaleToBpe: accumulate d0 lower and *= bpe into Cin addr
v_cndmask_b32 v7, -1, v7, s[64:65]                 // LDD clip if OOB. offset
v_accvgpr_read_b32 v[vgprValuC+8], acc48 // copy acc to vreg[96]
v_accvgpr_read_b32 v[vgprValuC+9], acc49 // copy acc to vreg[97]
v_accvgpr_read_b32 v[vgprValuC+10], acc144 // copy acc to vreg[98]
v_accvgpr_read_b32 v[vgprValuC+11], acc145 // copy acc to vreg[99]
v_accvgpr_read_b32 v[vgprValuC+12], acc56 // copy acc to vreg[100]
v_accvgpr_read_b32 v[vgprValuC+13], acc57 // copy acc to vreg[101]
v_accvgpr_read_b32 v[vgprValuC+14], acc152 // copy acc to vreg[102]
v_accvgpr_read_b32 v[vgprValuC+15], acc153 // copy acc to vreg[103]
s_nop 1                                            // 2 wait states required before reading vgpr

/* rC *= alpha batchElements=[(8, 0, 0, 0), (8, 1, 0, 0)] */
v_mul_f64 v[16:17], s[sgprAlpha+0:sgprAlpha+0+1], v[vgprValuC+8:vgprValuC+8+1] // 
v_mul_f64 v[18:19], s[sgprAlpha+2:sgprAlpha+2+1], v[vgprValuC+8:vgprValuC+8+1] // 
v_fma_f64 v[vgprValuC+8:vgprValuC+8+1], s[sgprAlpha+2:sgprAlpha+2+1], -v[vgprValuC+10:vgprValuC+10+1], v[16:17]
v_fma_f64 v[vgprValuC+10:vgprValuC+10+1], s[sgprAlpha+0:sgprAlpha+0+1], v[vgprValuC+10:vgprValuC+10+1], v[18:19]
v_mul_f64 v[16:17], s[sgprAlpha+0:sgprAlpha+0+1], v[vgprValuC+12:vgprValuC+12+1] // 
v_mul_f64 v[18:19], s[sgprAlpha+2:sgprAlpha+2+1], v[vgprValuC+12:vgprValuC+12+1] // 
v_fma_f64 v[vgprValuC+12:vgprValuC+12+1], s[sgprAlpha+2:sgprAlpha+2+1], -v[vgprValuC+14:vgprValuC+14+1], v[16:17]
v_fma_f64 v[vgprValuC+14:vgprValuC+14+1], s[sgprAlpha+0:sgprAlpha+0+1], v[vgprValuC+14:vgprValuC+14+1], v[18:19]

/* apply mask, calc new C and issue writes */
_buffer_store_b128 v[8:11], v6, s[sgprSrdD:sgprSrdD+3], 0, offen, offset:0,  nt // store D
_buffer_store_b128 v[12:15], v7, s[sgprSrdD:sgprSrdD+3], 0, offen, offset:0,  nt // store D
s_nop 0                                            // 1 wait state required when next inst writes vgprs held by previous dwordx4 store inst
/* optSingleColVgpr=0 optSharedColVgpr=0 optSGPRUsage=BufferLoad_Edge_Mask optSrdIncForRow=0 */
s_sleep 3 // optimization: sync and wait
s_barrier

/******************************************/
/* Global Write Alpha Edge Batch #13 (d1,d0,vc1,vc0) = */
/*    (8,2,0,0:vw1); (9,0,0,0:vw1)        */
/******************************************/

/* calc coords, apply mask, and issue loads (if necessary) */
/* (d1,vc1,d0,vc0)=(8,0,2,0) */
_v_add_co_u32 v4, vcc, v0, 64                      // coord0.1: coord0 += d0*sg0*VW + vc0
v_cmp_lt_u32 s[60:61], v4, s[sgprSizeI]            // coord0 < size0
v_cmp_lt_u32 s[64:65], v1, s[sgprSizeJ]            // coord1 < size1
s_and_b64 s[64:65], s[60:61], s[64:65]             // in0 && in1
_v_add_lshl_u32 v6, v3, v4, 0x4                    // scaleToBpe: accumulate d0 lower and *= bpe into Cin addr
v_cndmask_b32 v6, -1, v6, s[64:65]                 // LDD clip if OOB. offset
/* (d1,vc1,d0,vc0)=(9,0,0,0) */
_v_add_co_u32 v1, vcc, v1, 4                       // coord1.1: coord1Vgpr += d1*sg1*VW + vc1

/* Fix for UseInitialStridesCD, emitAddressSetupCode */
s_mul_i32 s60, s[sgprStrideC1J], 4                 // scale stride
_v_add_u32 v2, v2, s60                             // ROWINC- Move cinRowPtr to next row
s_mul_i32 s60, s[sgprStrideD1J], 4                 // scale stride
_v_add_u32 v3, v3, s60                             // Move coutRowPtr to next row
v_cmp_lt_u32 s[60:61], v0, s[sgprSizeI]            // coord0 < size0
v_cmp_lt_u32 s[64:65], v1, s[sgprSizeJ]            // coord1 < size1
s_and_b64 s[64:65], s[60:61], s[64:65]             // in0 && in1
_v_add_lshl_u32 v7, v3, v0, 0x4                    // scaleToBpe: accumulate d0 lower and *= bpe into Cin addr
v_cndmask_b32 v7, -1, v7, s[64:65]                 // LDD clip if OOB. offset
v_accvgpr_read_b32 v[vgprValuC+8], acc64 // copy acc to vreg[104]
v_accvgpr_read_b32 v[vgprValuC+9], acc65 // copy acc to vreg[105]
v_accvgpr_read_b32 v[vgprValuC+10], acc160 // copy acc to vreg[106]
v_accvgpr_read_b32 v[vgprValuC+11], acc161 // copy acc to vreg[107]
v_accvgpr_read_b32 v[vgprValuC+12], acc50 // copy acc to vreg[108]
v_accvgpr_read_b32 v[vgprValuC+13], acc51 // copy acc to vreg[109]
v_accvgpr_read_b32 v[vgprValuC+14], acc146 // copy acc to vreg[110]
v_accvgpr_read_b32 v[vgprValuC+15], acc147 // copy acc to vreg[111]
s_nop 1                                            // 2 wait states required before reading vgpr

/* rC *= alpha batchElements=[(8, 2, 0, 0), (9, 0, 0, 0)] */
v_mul_f64 v[16:17], s[sgprAlpha+0:sgprAlpha+0+1], v[vgprValuC+8:vgprValuC+8+1] // 
v_mul_f64 v[18:19], s[sgprAlpha+2:sgprAlpha+2+1], v[vgprValuC+8:vgprValuC+8+1] // 
v_fma_f64 v[vgprValuC+8:vgprValuC+8+1], s[sgprAlpha+2:sgprAlpha+2+1], -v[vgprValuC+10:vgprValuC+10+1], v[16:17]
v_fma_f64 v[vgprValuC+10:vgprValuC+10+1], s[sgprAlpha+0:sgprAlpha+0+1], v[vgprValuC+10:vgprValuC+10+1], v[18:19]
v_mul_f64 v[16:17], s[sgprAlpha+0:sgprAlpha+0+1], v[vgprValuC+12:vgprValuC+12+1] // 
v_mul_f64 v[18:19], s[sgprAlpha+2:sgprAlpha+2+1], v[vgprValuC+12:vgprValuC+12+1] // 
v_fma_f64 v[vgprValuC+12:vgprValuC+12+1], s[sgprAlpha+2:sgprAlpha+2+1], -v[vgprValuC+14:vgprValuC+14+1], v[16:17]
v_fma_f64 v[vgprValuC+14:vgprValuC+14+1], s[sgprAlpha+0:sgprAlpha+0+1], v[vgprValuC+14:vgprValuC+14+1], v[18:19]

/* apply mask, calc new C and issue writes */
_buffer_store_b128 v[8:11], v6, s[sgprSrdD:sgprSrdD+3], 0, offen, offset:0,  nt // store D
_buffer_store_b128 v[12:15], v7, s[sgprSrdD:sgprSrdD+3], 0, offen, offset:0,  nt // store D
s_nop 0                                            // 1 wait state required when next inst writes vgprs held by previous dwordx4 store inst
/* optSingleColVgpr=0 optSharedColVgpr=0 optSGPRUsage=BufferLoad_Edge_Mask optSrdIncForRow=0 */
s_sleep 3 // optimization: sync and wait
s_barrier

/******************************************/
/* Global Write Alpha Edge Batch #14 (d1,d0,vc1,vc0) = */
/*    (9,1,0,0:vw1); (9,2,0,0:vw1)        */
/******************************************/

/* calc coords, apply mask, and issue loads (if necessary) */
/* (d1,vc1,d0,vc0)=(9,0,1,0) */
_v_add_co_u32 v4, vcc, v0, 32                      // coord0.1: coord0 += d0*sg0*VW + vc0
v_cmp_lt_u32 s[60:61], v4, s[sgprSizeI]            // coord0 < size0
v_cmp_lt_u32 s[64:65], v1, s[sgprSizeJ]            // coord1 < size1
s_and_b64 s[64:65], s[60:61], s[64:65]             // in0 && in1
_v_add_lshl_u32 v6, v3, v4, 0x4                    // scaleToBpe: accumulate d0 lower and *= bpe into Cin addr
v_cndmask_b32 v6, -1, v6, s[64:65]                 // LDD clip if OOB. offset
/* (d1,vc1,d0,vc0)=(9,0,2,0) */
_v_add_co_u32 v4, vcc, v0, 64                      // coord0.1: coord0 += d0*sg0*VW + vc0
v_cmp_lt_u32 s[60:61], v4, s[sgprSizeI]            // coord0 < size0
v_cmp_lt_u32 s[64:65], v1, s[sgprSizeJ]            // coord1 < size1
s_and_b64 s[64:65], s[60:61], s[64:65]             // in0 && in1
_v_add_lshl_u32 v7, v3, v4, 0x4                    // scaleToBpe: accumulate d0 lower and *= bpe into Cin addr
v_cndmask_b32 v7, -1, v7, s[64:65]                 // LDD clip if OOB. offset
v_accvgpr_read_b32 v[vgprValuC+8], acc58 // copy acc to vreg[112]
v_accvgpr_read_b32 v[vgprValuC+9], acc59 // copy acc to vreg[113]
v_accvgpr_read_b32 v[vgprValuC+10], acc154 // copy acc to vreg[114]
v_accvgpr_read_b32 v[vgprValuC+11], acc155 // copy acc to vreg[115]
v_accvgpr_read_b32 v[vgprValuC+12], acc66 // copy acc to vreg[116]
v_accvgpr_read_b32 v[vgprValuC+13], acc67 // copy acc to vreg[117]
v_accvgpr_read_b32 v[vgprValuC+14], acc162 // copy acc to vreg[118]
v_accvgpr_read_b32 v[vgprValuC+15], acc163 // copy acc to vreg[119]
s_nop 1                                            // 2 wait states required before reading vgpr

/* rC *= alpha batchElements=[(9, 1, 0, 0), (9, 2, 0, 0)] */
v_mul_f64 v[16:17], s[sgprAlpha+0:sgprAlpha+0+1], v[vgprValuC+8:vgprValuC+8+1] // 
v_mul_f64 v[18:19], s[sgprAlpha+2:sgprAlpha+2+1], v[vgprValuC+8:vgprValuC+8+1] // 
v_fma_f64 v[vgprValuC+8:vgprValuC+8+1], s[sgprAlpha+2:sgprAlpha+2+1], -v[vgprValuC+10:vgprValuC+10+1], v[16:17]
v_fma_f64 v[vgprValuC+10:vgprValuC+10+1], s[sgprAlpha+0:sgprAlpha+0+1], v[vgprValuC+10:vgprValuC+10+1], v[18:19]
v_mul_f64 v[16:17], s[sgprAlpha+0:sgprAlpha+0+1], v[vgprValuC+12:vgprValuC+12+1] // 
v_mul_f64 v[18:19], s[sgprAlpha+2:sgprAlpha+2+1], v[vgprValuC+12:vgprValuC+12+1] // 
v_fma_f64 v[vgprValuC+12:vgprValuC+12+1], s[sgprAlpha+2:sgprAlpha+2+1], -v[vgprValuC+14:vgprValuC+14+1], v[16:17]
v_fma_f64 v[vgprValuC+14:vgprValuC+14+1], s[sgprAlpha+0:sgprAlpha+0+1], v[vgprValuC+14:vgprValuC+14+1], v[18:19]

/* apply mask, calc new C and issue writes */
_buffer_store_b128 v[8:11], v6, s[sgprSrdD:sgprSrdD+3], 0, offen, offset:0,  nt // store D
_buffer_store_b128 v[12:15], v7, s[sgprSrdD:sgprSrdD+3], 0, offen, offset:0,  nt // store D
s_nop 0                                            // 1 wait state required when next inst writes vgprs held by previous dwordx4 store inst
/* optSingleColVgpr=0 optSharedColVgpr=0 optSGPRUsage=BufferLoad_Edge_Mask optSrdIncForRow=0 */
s_sleep 3 // optimization: sync and wait
s_barrier

/******************************************/
/* Global Write Alpha Edge Batch #15 (d1,d0,vc1,vc0) = */
/*    (10,0,0,0:vw1); (10,1,0,0:vw1)      */
/******************************************/

/* calc coords, apply mask, and issue loads (if necessary) */
/* (d1,vc1,d0,vc0)=(10,0,0,0) */
_v_add_co_u32 v1, vcc, v1, 4                       // coord1.1: coord1Vgpr += d1*sg1*VW + vc1

/* Fix for UseInitialStridesCD, emitAddressSetupCode */
s_mul_i32 s60, s[sgprStrideC1J], 4                 // scale stride
_v_add_u32 v2, v2, s60                             // ROWINC- Move cinRowPtr to next row
s_mul_i32 s60, s[sgprStrideD1J], 4                 // scale stride
_v_add_u32 v3, v3, s60                             // Move coutRowPtr to next row
v_cmp_lt_u32 s[60:61], v0, s[sgprSizeI]            // coord0 < size0
v_cmp_lt_u32 s[64:65], v1, s[sgprSizeJ]            // coord1 < size1
s_and_b64 s[64:65], s[60:61], s[64:65]             // in0 && in1
_v_add_lshl_u32 v6, v3, v0, 0x4                    // scaleToBpe: accumulate d0 lower and *= bpe into Cin addr
v_cndmask_b32 v6, -1, v6, s[64:65]                 // LDD clip if OOB. offset
/* (d1,vc1,d0,vc0)=(10,0,1,0) */
_v_add_co_u32 v4, vcc, v0, 32                      // coord0.1: coord0 += d0*sg0*VW + vc0
v_cmp_lt_u32 s[60:61], v4, s[sgprSizeI]            // coord0 < size0
v_cmp_lt_u32 s[64:65], v1, s[sgprSizeJ]            // coord1 < size1
s_and_b64 s[64:65], s[60:61], s[64:65]             // in0 && in1
_v_add_lshl_u32 v7, v3, v4, 0x4                    // scaleToBpe: accumulate d0 lower and *= bpe into Cin addr
v_cndmask_b32 v7, -1, v7, s[64:65]                 // LDD clip if OOB. offset
v_accvgpr_read_b32 v[vgprValuC+8], acc52 // copy acc to vreg[120]
v_accvgpr_read_b32 v[vgprValuC+9], acc53 // copy acc to vreg[121]
v_accvgpr_read_b32 v[vgprValuC+10], acc148 // copy acc to vreg[122]
v_accvgpr_read_b32 v[vgprValuC+11], acc149 // copy acc to vreg[123]
v_accvgpr_read_b32 v[vgprValuC+12], acc60 // copy acc to vreg[124]
v_accvgpr_read_b32 v[vgprValuC+13], acc61 // copy acc to vreg[125]
v_accvgpr_read_b32 v[vgprValuC+14], acc156 // copy acc to vreg[126]
v_accvgpr_read_b32 v[vgprValuC+15], acc157 // copy acc to vreg[127]
s_nop 1                                            // 2 wait states required before reading vgpr

/* rC *= alpha batchElements=[(10, 0, 0, 0), (10, 1, 0, 0)] */
v_mul_f64 v[16:17], s[sgprAlpha+0:sgprAlpha+0+1], v[vgprValuC+8:vgprValuC+8+1] // 
v_mul_f64 v[18:19], s[sgprAlpha+2:sgprAlpha+2+1], v[vgprValuC+8:vgprValuC+8+1] // 
v_fma_f64 v[vgprValuC+8:vgprValuC+8+1], s[sgprAlpha+2:sgprAlpha+2+1], -v[vgprValuC+10:vgprValuC+10+1], v[16:17]
v_fma_f64 v[vgprValuC+10:vgprValuC+10+1], s[sgprAlpha+0:sgprAlpha+0+1], v[vgprValuC+10:vgprValuC+10+1], v[18:19]
v_mul_f64 v[16:17], s[sgprAlpha+0:sgprAlpha+0+1], v[vgprValuC+12:vgprValuC+12+1] // 
v_mul_f64 v[18:19], s[sgprAlpha+2:sgprAlpha+2+1], v[vgprValuC+12:vgprValuC+12+1] // 
v_fma_f64 v[vgprValuC+12:vgprValuC+12+1], s[sgprAlpha+2:sgprAlpha+2+1], -v[vgprValuC+14:vgprValuC+14+1], v[16:17]
v_fma_f64 v[vgprValuC+14:vgprValuC+14+1], s[sgprAlpha+0:sgprAlpha+0+1], v[vgprValuC+14:vgprValuC+14+1], v[18:19]

/* apply mask, calc new C and issue writes */
_buffer_store_b128 v[8:11], v6, s[sgprSrdD:sgprSrdD+3], 0, offen, offset:0,  nt // store D
_buffer_store_b128 v[12:15], v7, s[sgprSrdD:sgprSrdD+3], 0, offen, offset:0,  nt // store D
s_nop 0                                            // 1 wait state required when next inst writes vgprs held by previous dwordx4 store inst
/* optSingleColVgpr=0 optSharedColVgpr=0 optSGPRUsage=BufferLoad_Edge_Mask optSrdIncForRow=0 */
s_sleep 3 // optimization: sync and wait
s_barrier

/******************************************/
/* Global Write Alpha Edge Batch #16 (d1,d0,vc1,vc0) = */
/*    (10,2,0,0:vw1); (11,0,0,0:vw1)      */
/******************************************/

/* calc coords, apply mask, and issue loads (if necessary) */
/* (d1,vc1,d0,vc0)=(10,0,2,0) */
_v_add_co_u32 v4, vcc, v0, 64                      // coord0.1: coord0 += d0*sg0*VW + vc0
v_cmp_lt_u32 s[60:61], v4, s[sgprSizeI]            // coord0 < size0
v_cmp_lt_u32 s[64:65], v1, s[sgprSizeJ]            // coord1 < size1
s_and_b64 s[64:65], s[60:61], s[64:65]             // in0 && in1
_v_add_lshl_u32 v6, v3, v4, 0x4                    // scaleToBpe: accumulate d0 lower and *= bpe into Cin addr
v_cndmask_b32 v6, -1, v6, s[64:65]                 // LDD clip if OOB. offset
/* (d1,vc1,d0,vc0)=(11,0,0,0) */
_v_add_co_u32 v1, vcc, v1, 4                       // coord1.1: coord1Vgpr += d1*sg1*VW + vc1

/* Fix for UseInitialStridesCD, emitAddressSetupCode */
s_mul_i32 s60, s[sgprStrideC1J], 4                 // scale stride
_v_add_u32 v2, v2, s60                             // ROWINC- Move cinRowPtr to next row
s_mul_i32 s60, s[sgprStrideD1J], 4                 // scale stride
_v_add_u32 v3, v3, s60                             // Move coutRowPtr to next row
v_cmp_lt_u32 s[60:61], v0, s[sgprSizeI]            // coord0 < size0
v_cmp_lt_u32 s[64:65], v1, s[sgprSizeJ]            // coord1 < size1
s_and_b64 s[64:65], s[60:61], s[64:65]             // in0 && in1
_v_add_lshl_u32 v7, v3, v0, 0x4                    // scaleToBpe: accumulate d0 lower and *= bpe into Cin addr
v_cndmask_b32 v7, -1, v7, s[64:65]                 // LDD clip if OOB. offset
v_accvgpr_read_b32 v[vgprValuC+8], acc68 // copy acc to vreg[128]
v_accvgpr_read_b32 v[vgprValuC+9], acc69 // copy acc to vreg[129]
v_accvgpr_read_b32 v[vgprValuC+10], acc164 // copy acc to vreg[130]
v_accvgpr_read_b32 v[vgprValuC+11], acc165 // copy acc to vreg[131]
v_accvgpr_read_b32 v[vgprValuC+12], acc54 // copy acc to vreg[132]
v_accvgpr_read_b32 v[vgprValuC+13], acc55 // copy acc to vreg[133]
v_accvgpr_read_b32 v[vgprValuC+14], acc150 // copy acc to vreg[134]
v_accvgpr_read_b32 v[vgprValuC+15], acc151 // copy acc to vreg[135]
s_nop 1                                            // 2 wait states required before reading vgpr

/* rC *= alpha batchElements=[(10, 2, 0, 0), (11, 0, 0, 0)] */
v_mul_f64 v[16:17], s[sgprAlpha+0:sgprAlpha+0+1], v[vgprValuC+8:vgprValuC+8+1] // 
v_mul_f64 v[18:19], s[sgprAlpha+2:sgprAlpha+2+1], v[vgprValuC+8:vgprValuC+8+1] // 
v_fma_f64 v[vgprValuC+8:vgprValuC+8+1], s[sgprAlpha+2:sgprAlpha+2+1], -v[vgprValuC+10:vgprValuC+10+1], v[16:17]
v_fma_f64 v[vgprValuC+10:vgprValuC+10+1], s[sgprAlpha+0:sgprAlpha+0+1], v[vgprValuC+10:vgprValuC+10+1], v[18:19]
v_mul_f64 v[16:17], s[sgprAlpha+0:sgprAlpha+0+1], v[vgprValuC+12:vgprValuC+12+1] // 
v_mul_f64 v[18:19], s[sgprAlpha+2:sgprAlpha+2+1], v[vgprValuC+12:vgprValuC+12+1] // 
v_fma_f64 v[vgprValuC+12:vgprValuC+12+1], s[sgprAlpha+2:sgprAlpha+2+1], -v[vgprValuC+14:vgprValuC+14+1], v[16:17]
v_fma_f64 v[vgprValuC+14:vgprValuC+14+1], s[sgprAlpha+0:sgprAlpha+0+1], v[vgprValuC+14:vgprValuC+14+1], v[18:19]

/* apply mask, calc new C and issue writes */
_buffer_store_b128 v[8:11], v6, s[sgprSrdD:sgprSrdD+3], 0, offen, offset:0,  nt // store D
_buffer_store_b128 v[12:15], v7, s[sgprSrdD:sgprSrdD+3], 0, offen, offset:0,  nt // store D
s_nop 0                                            // 1 wait state required when next inst writes vgprs held by previous dwordx4 store inst
/* optSingleColVgpr=0 optSharedColVgpr=0 optSGPRUsage=BufferLoad_Edge_Mask optSrdIncForRow=0 */
s_sleep 3 // optimization: sync and wait
s_barrier

/******************************************/
/* Global Write Alpha Edge Batch #17 (d1,d0,vc1,vc0) = */
/*    (11,1,0,0:vw1); (11,2,0,0:vw1)      */
/******************************************/

/* calc coords, apply mask, and issue loads (if necessary) */
/* (d1,vc1,d0,vc0)=(11,0,1,0) */
_v_add_co_u32 v4, vcc, v0, 32                      // coord0.1: coord0 += d0*sg0*VW + vc0
v_cmp_lt_u32 s[60:61], v4, s[sgprSizeI]            // coord0 < size0
v_cmp_lt_u32 s[64:65], v1, s[sgprSizeJ]            // coord1 < size1
s_and_b64 s[64:65], s[60:61], s[64:65]             // in0 && in1
_v_add_lshl_u32 v6, v3, v4, 0x4                    // scaleToBpe: accumulate d0 lower and *= bpe into Cin addr
v_cndmask_b32 v6, -1, v6, s[64:65]                 // LDD clip if OOB. offset
/* (d1,vc1,d0,vc0)=(11,0,2,0) */
_v_add_co_u32 v4, vcc, v0, 64                      // coord0.1: coord0 += d0*sg0*VW + vc0
v_cmp_lt_u32 s[60:61], v4, s[sgprSizeI]            // coord0 < size0
v_cmp_lt_u32 s[64:65], v1, s[sgprSizeJ]            // coord1 < size1
s_and_b64 s[64:65], s[60:61], s[64:65]             // in0 && in1
_v_add_lshl_u32 v7, v3, v4, 0x4                    // scaleToBpe: accumulate d0 lower and *= bpe into Cin addr
v_cndmask_b32 v7, -1, v7, s[64:65]                 // LDD clip if OOB. offset
v_accvgpr_read_b32 v[vgprValuC+8], acc62 // copy acc to vreg[136]
v_accvgpr_read_b32 v[vgprValuC+9], acc63 // copy acc to vreg[137]
v_accvgpr_read_b32 v[vgprValuC+10], acc158 // copy acc to vreg[138]
v_accvgpr_read_b32 v[vgprValuC+11], acc159 // copy acc to vreg[139]
v_accvgpr_read_b32 v[vgprValuC+12], acc70 // copy acc to vreg[140]
v_accvgpr_read_b32 v[vgprValuC+13], acc71 // copy acc to vreg[141]
v_accvgpr_read_b32 v[vgprValuC+14], acc166 // copy acc to vreg[142]
v_accvgpr_read_b32 v[vgprValuC+15], acc167 // copy acc to vreg[143]
s_nop 1                                            // 2 wait states required before reading vgpr

/* rC *= alpha batchElements=[(11, 1, 0, 0), (11, 2, 0, 0)] */
v_mul_f64 v[16:17], s[sgprAlpha+0:sgprAlpha+0+1], v[vgprValuC+8:vgprValuC+8+1] // 
v_mul_f64 v[18:19], s[sgprAlpha+2:sgprAlpha+2+1], v[vgprValuC+8:vgprValuC+8+1] // 
v_fma_f64 v[vgprValuC+8:vgprValuC+8+1], s[sgprAlpha+2:sgprAlpha+2+1], -v[vgprValuC+10:vgprValuC+10+1], v[16:17]
v_fma_f64 v[vgprValuC+10:vgprValuC+10+1], s[sgprAlpha+0:sgprAlpha+0+1], v[vgprValuC+10:vgprValuC+10+1], v[18:19]
v_mul_f64 v[16:17], s[sgprAlpha+0:sgprAlpha+0+1], v[vgprValuC+12:vgprValuC+12+1] // 
v_mul_f64 v[18:19], s[sgprAlpha+2:sgprAlpha+2+1], v[vgprValuC+12:vgprValuC+12+1] // 
v_fma_f64 v[vgprValuC+12:vgprValuC+12+1], s[sgprAlpha+2:sgprAlpha+2+1], -v[vgprValuC+14:vgprValuC+14+1], v[16:17]
v_fma_f64 v[vgprValuC+14:vgprValuC+14+1], s[sgprAlpha+0:sgprAlpha+0+1], v[vgprValuC+14:vgprValuC+14+1], v[18:19]

/* apply mask, calc new C and issue writes */
_buffer_store_b128 v[8:11], v6, s[sgprSrdD:sgprSrdD+3], 0, offen, offset:0,  nt // store D
_buffer_store_b128 v[12:15], v7, s[sgprSrdD:sgprSrdD+3], 0, offen, offset:0,  nt // store D
s_nop 0                                            // 1 wait state required when next inst writes vgprs held by previous dwordx4 store inst
/* optSingleColVgpr=0 optSharedColVgpr=0 optSGPRUsage=BufferLoad_Edge_Mask optSrdIncForRow=0 */
s_sleep 3 // optimization: sync and wait
s_barrier

/******************************************/
/* Global Write Alpha Edge Batch #18 (d1,d0,vc1,vc0) = */
/*    (12,0,0,0:vw1); (12,1,0,0:vw1)      */
/******************************************/

/* calc coords, apply mask, and issue loads (if necessary) */
/* (d1,vc1,d0,vc0)=(12,0,0,0) */
_v_add_co_u32 v1, vcc, v1, 20                      // coord1.1: coord1Vgpr += d1*sg1*VW + vc1

/* Fix for UseInitialStridesCD, emitAddressSetupCode */
s_mul_i32 s60, s[sgprStrideC1J], 20                // scale stride
_v_add_u32 v2, v2, s60                             // ROWINC- Move cinRowPtr to next row
s_mul_i32 s60, s[sgprStrideD1J], 20                // scale stride
_v_add_u32 v3, v3, s60                             // Move coutRowPtr to next row
v_cmp_lt_u32 s[60:61], v0, s[sgprSizeI]            // coord0 < size0
v_cmp_lt_u32 s[64:65], v1, s[sgprSizeJ]            // coord1 < size1
s_and_b64 s[64:65], s[60:61], s[64:65]             // in0 && in1
_v_add_lshl_u32 v6, v3, v0, 0x4                    // scaleToBpe: accumulate d0 lower and *= bpe into Cin addr
v_cndmask_b32 v6, -1, v6, s[64:65]                 // LDD clip if OOB. offset
/* (d1,vc1,d0,vc0)=(12,0,1,0) */
_v_add_co_u32 v4, vcc, v0, 32                      // coord0.1: coord0 += d0*sg0*VW + vc0
v_cmp_lt_u32 s[60:61], v4, s[sgprSizeI]            // coord0 < size0
v_cmp_lt_u32 s[64:65], v1, s[sgprSizeJ]            // coord1 < size1
s_and_b64 s[64:65], s[60:61], s[64:65]             // in0 && in1
_v_add_lshl_u32 v7, v3, v4, 0x4                    // scaleToBpe: accumulate d0 lower and *= bpe into Cin addr
v_cndmask_b32 v7, -1, v7, s[64:65]                 // LDD clip if OOB. offset
v_accvgpr_read_b32 v[vgprValuC+8], acc72 // copy acc to vreg[144]
v_accvgpr_read_b32 v[vgprValuC+9], acc73 // copy acc to vreg[145]
v_accvgpr_read_b32 v[vgprValuC+10], acc168 // copy acc to vreg[146]
v_accvgpr_read_b32 v[vgprValuC+11], acc169 // copy acc to vreg[147]
v_accvgpr_read_b32 v[vgprValuC+12], acc80 // copy acc to vreg[148]
v_accvgpr_read_b32 v[vgprValuC+13], acc81 // copy acc to vreg[149]
v_accvgpr_read_b32 v[vgprValuC+14], acc176 // copy acc to vreg[150]
v_accvgpr_read_b32 v[vgprValuC+15], acc177 // copy acc to vreg[151]
s_nop 1                                            // 2 wait states required before reading vgpr

/* rC *= alpha batchElements=[(12, 0, 0, 0), (12, 1, 0, 0)] */
v_mul_f64 v[16:17], s[sgprAlpha+0:sgprAlpha+0+1], v[vgprValuC+8:vgprValuC+8+1] // 
v_mul_f64 v[18:19], s[sgprAlpha+2:sgprAlpha+2+1], v[vgprValuC+8:vgprValuC+8+1] // 
v_fma_f64 v[vgprValuC+8:vgprValuC+8+1], s[sgprAlpha+2:sgprAlpha+2+1], -v[vgprValuC+10:vgprValuC+10+1], v[16:17]
v_fma_f64 v[vgprValuC+10:vgprValuC+10+1], s[sgprAlpha+0:sgprAlpha+0+1], v[vgprValuC+10:vgprValuC+10+1], v[18:19]
v_mul_f64 v[16:17], s[sgprAlpha+0:sgprAlpha+0+1], v[vgprValuC+12:vgprValuC+12+1] // 
v_mul_f64 v[18:19], s[sgprAlpha+2:sgprAlpha+2+1], v[vgprValuC+12:vgprValuC+12+1] // 
v_fma_f64 v[vgprValuC+12:vgprValuC+12+1], s[sgprAlpha+2:sgprAlpha+2+1], -v[vgprValuC+14:vgprValuC+14+1], v[16:17]
v_fma_f64 v[vgprValuC+14:vgprValuC+14+1], s[sgprAlpha+0:sgprAlpha+0+1], v[vgprValuC+14:vgprValuC+14+1], v[18:19]

/* apply mask, calc new C and issue writes */
_buffer_store_b128 v[8:11], v6, s[sgprSrdD:sgprSrdD+3], 0, offen, offset:0,  nt // store D
_buffer_store_b128 v[12:15], v7, s[sgprSrdD:sgprSrdD+3], 0, offen, offset:0,  nt // store D
s_nop 0                                            // 1 wait state required when next inst writes vgprs held by previous dwordx4 store inst
/* optSingleColVgpr=0 optSharedColVgpr=0 optSGPRUsage=BufferLoad_Edge_Mask optSrdIncForRow=0 */
s_sleep 3 // optimization: sync and wait
s_barrier

/******************************************/
/* Global Write Alpha Edge Batch #19 (d1,d0,vc1,vc0) = */
/*    (12,2,0,0:vw1); (13,0,0,0:vw1)      */
/******************************************/

/* calc coords, apply mask, and issue loads (if necessary) */
/* (d1,vc1,d0,vc0)=(12,0,2,0) */
_v_add_co_u32 v4, vcc, v0, 64                      // coord0.1: coord0 += d0*sg0*VW + vc0
v_cmp_lt_u32 s[60:61], v4, s[sgprSizeI]            // coord0 < size0
v_cmp_lt_u32 s[64:65], v1, s[sgprSizeJ]            // coord1 < size1
s_and_b64 s[64:65], s[60:61], s[64:65]             // in0 && in1
_v_add_lshl_u32 v6, v3, v4, 0x4                    // scaleToBpe: accumulate d0 lower and *= bpe into Cin addr
v_cndmask_b32 v6, -1, v6, s[64:65]                 // LDD clip if OOB. offset
/* (d1,vc1,d0,vc0)=(13,0,0,0) */
_v_add_co_u32 v1, vcc, v1, 4                       // coord1.1: coord1Vgpr += d1*sg1*VW + vc1

/* Fix for UseInitialStridesCD, emitAddressSetupCode */
s_mul_i32 s60, s[sgprStrideC1J], 4                 // scale stride
_v_add_u32 v2, v2, s60                             // ROWINC- Move cinRowPtr to next row
s_mul_i32 s60, s[sgprStrideD1J], 4                 // scale stride
_v_add_u32 v3, v3, s60                             // Move coutRowPtr to next row
v_cmp_lt_u32 s[60:61], v0, s[sgprSizeI]            // coord0 < size0
v_cmp_lt_u32 s[64:65], v1, s[sgprSizeJ]            // coord1 < size1
s_and_b64 s[64:65], s[60:61], s[64:65]             // in0 && in1
_v_add_lshl_u32 v7, v3, v0, 0x4                    // scaleToBpe: accumulate d0 lower and *= bpe into Cin addr
v_cndmask_b32 v7, -1, v7, s[64:65]                 // LDD clip if OOB. offset
v_accvgpr_read_b32 v[vgprValuC+8], acc88 // copy acc to vreg[152]
v_accvgpr_read_b32 v[vgprValuC+9], acc89 // copy acc to vreg[153]
v_accvgpr_read_b32 v[vgprValuC+10], acc184 // copy acc to vreg[154]
v_accvgpr_read_b32 v[vgprValuC+11], acc185 // copy acc to vreg[155]
v_accvgpr_read_b32 v[vgprValuC+12], acc74 // copy acc to vreg[156]
v_accvgpr_read_b32 v[vgprValuC+13], acc75 // copy acc to vreg[157]
v_accvgpr_read_b32 v[vgprValuC+14], acc170 // copy acc to vreg[158]
v_accvgpr_read_b32 v[vgprValuC+15], acc171 // copy acc to vreg[159]
s_nop 1                                            // 2 wait states required before reading vgpr

/* rC *= alpha batchElements=[(12, 2, 0, 0), (13, 0, 0, 0)] */
v_mul_f64 v[16:17], s[sgprAlpha+0:sgprAlpha+0+1], v[vgprValuC+8:vgprValuC+8+1] // 
v_mul_f64 v[18:19], s[sgprAlpha+2:sgprAlpha+2+1], v[vgprValuC+8:vgprValuC+8+1] // 
v_fma_f64 v[vgprValuC+8:vgprValuC+8+1], s[sgprAlpha+2:sgprAlpha+2+1], -v[vgprValuC+10:vgprValuC+10+1], v[16:17]
v_fma_f64 v[vgprValuC+10:vgprValuC+10+1], s[sgprAlpha+0:sgprAlpha+0+1], v[vgprValuC+10:vgprValuC+10+1], v[18:19]
v_mul_f64 v[16:17], s[sgprAlpha+0:sgprAlpha+0+1], v[vgprValuC+12:vgprValuC+12+1] // 
v_mul_f64 v[18:19], s[sgprAlpha+2:sgprAlpha+2+1], v[vgprValuC+12:vgprValuC+12+1] // 
v_fma_f64 v[vgprValuC+12:vgprValuC+12+1], s[sgprAlpha+2:sgprAlpha+2+1], -v[vgprValuC+14:vgprValuC+14+1], v[16:17]
v_fma_f64 v[vgprValuC+14:vgprValuC+14+1], s[sgprAlpha+0:sgprAlpha+0+1], v[vgprValuC+14:vgprValuC+14+1], v[18:19]

/* apply mask, calc new C and issue writes */
_buffer_store_b128 v[8:11], v6, s[sgprSrdD:sgprSrdD+3], 0, offen, offset:0,  nt // store D
_buffer_store_b128 v[12:15], v7, s[sgprSrdD:sgprSrdD+3], 0, offen, offset:0,  nt // store D
s_nop 0                                            // 1 wait state required when next inst writes vgprs held by previous dwordx4 store inst
/* optSingleColVgpr=0 optSharedColVgpr=0 optSGPRUsage=BufferLoad_Edge_Mask optSrdIncForRow=0 */
s_sleep 3 // optimization: sync and wait
s_barrier

/******************************************/
/* Global Write Alpha Edge Batch #20 (d1,d0,vc1,vc0) = */
/*    (13,1,0,0:vw1); (13,2,0,0:vw1)      */
/******************************************/

/* calc coords, apply mask, and issue loads (if necessary) */
/* (d1,vc1,d0,vc0)=(13,0,1,0) */
_v_add_co_u32 v4, vcc, v0, 32                      // coord0.1: coord0 += d0*sg0*VW + vc0
v_cmp_lt_u32 s[60:61], v4, s[sgprSizeI]            // coord0 < size0
v_cmp_lt_u32 s[64:65], v1, s[sgprSizeJ]            // coord1 < size1
s_and_b64 s[64:65], s[60:61], s[64:65]             // in0 && in1
_v_add_lshl_u32 v6, v3, v4, 0x4                    // scaleToBpe: accumulate d0 lower and *= bpe into Cin addr
v_cndmask_b32 v6, -1, v6, s[64:65]                 // LDD clip if OOB. offset
/* (d1,vc1,d0,vc0)=(13,0,2,0) */
_v_add_co_u32 v4, vcc, v0, 64                      // coord0.1: coord0 += d0*sg0*VW + vc0
v_cmp_lt_u32 s[60:61], v4, s[sgprSizeI]            // coord0 < size0
v_cmp_lt_u32 s[64:65], v1, s[sgprSizeJ]            // coord1 < size1
s_and_b64 s[64:65], s[60:61], s[64:65]             // in0 && in1
_v_add_lshl_u32 v7, v3, v4, 0x4                    // scaleToBpe: accumulate d0 lower and *= bpe into Cin addr
v_cndmask_b32 v7, -1, v7, s[64:65]                 // LDD clip if OOB. offset
v_accvgpr_read_b32 v[vgprValuC+8], acc82 // copy acc to vreg[160]
v_accvgpr_read_b32 v[vgprValuC+9], acc83 // copy acc to vreg[161]
v_accvgpr_read_b32 v[vgprValuC+10], acc178 // copy acc to vreg[162]
v_accvgpr_read_b32 v[vgprValuC+11], acc179 // copy acc to vreg[163]
v_accvgpr_read_b32 v[vgprValuC+12], acc90 // copy acc to vreg[164]
v_accvgpr_read_b32 v[vgprValuC+13], acc91 // copy acc to vreg[165]
v_accvgpr_read_b32 v[vgprValuC+14], acc186 // copy acc to vreg[166]
v_accvgpr_read_b32 v[vgprValuC+15], acc187 // copy acc to vreg[167]
s_nop 1                                            // 2 wait states required before reading vgpr

/* rC *= alpha batchElements=[(13, 1, 0, 0), (13, 2, 0, 0)] */
v_mul_f64 v[16:17], s[sgprAlpha+0:sgprAlpha+0+1], v[vgprValuC+8:vgprValuC+8+1] // 
v_mul_f64 v[18:19], s[sgprAlpha+2:sgprAlpha+2+1], v[vgprValuC+8:vgprValuC+8+1] // 
v_fma_f64 v[vgprValuC+8:vgprValuC+8+1], s[sgprAlpha+2:sgprAlpha+2+1], -v[vgprValuC+10:vgprValuC+10+1], v[16:17]
v_fma_f64 v[vgprValuC+10:vgprValuC+10+1], s[sgprAlpha+0:sgprAlpha+0+1], v[vgprValuC+10:vgprValuC+10+1], v[18:19]
v_mul_f64 v[16:17], s[sgprAlpha+0:sgprAlpha+0+1], v[vgprValuC+12:vgprValuC+12+1] // 
v_mul_f64 v[18:19], s[sgprAlpha+2:sgprAlpha+2+1], v[vgprValuC+12:vgprValuC+12+1] // 
v_fma_f64 v[vgprValuC+12:vgprValuC+12+1], s[sgprAlpha+2:sgprAlpha+2+1], -v[vgprValuC+14:vgprValuC+14+1], v[16:17]
v_fma_f64 v[vgprValuC+14:vgprValuC+14+1], s[sgprAlpha+0:sgprAlpha+0+1], v[vgprValuC+14:vgprValuC+14+1], v[18:19]

/* apply mask, calc new C and issue writes */
_buffer_store_b128 v[8:11], v6, s[sgprSrdD:sgprSrdD+3], 0, offen, offset:0,  nt // store D
_buffer_store_b128 v[12:15], v7, s[sgprSrdD:sgprSrdD+3], 0, offen, offset:0,  nt // store D
s_nop 0                                            // 1 wait state required when next inst writes vgprs held by previous dwordx4 store inst
/* optSingleColVgpr=0 optSharedColVgpr=0 optSGPRUsage=BufferLoad_Edge_Mask optSrdIncForRow=0 */
s_sleep 3 // optimization: sync and wait
s_barrier

/******************************************/
/* Global Write Alpha Edge Batch #21 (d1,d0,vc1,vc0) = */
/*    (14,0,0,0:vw1); (14,1,0,0:vw1)      */
/******************************************/

/* calc coords, apply mask, and issue loads (if necessary) */
/* (d1,vc1,d0,vc0)=(14,0,0,0) */
_v_add_co_u32 v1, vcc, v1, 4                       // coord1.1: coord1Vgpr += d1*sg1*VW + vc1

/* Fix for UseInitialStridesCD, emitAddressSetupCode */
s_mul_i32 s60, s[sgprStrideC1J], 4                 // scale stride
_v_add_u32 v2, v2, s60                             // ROWINC- Move cinRowPtr to next row
s_mul_i32 s60, s[sgprStrideD1J], 4                 // scale stride
_v_add_u32 v3, v3, s60                             // Move coutRowPtr to next row
v_cmp_lt_u32 s[60:61], v0, s[sgprSizeI]            // coord0 < size0
v_cmp_lt_u32 s[64:65], v1, s[sgprSizeJ]            // coord1 < size1
s_and_b64 s[64:65], s[60:61], s[64:65]             // in0 && in1
_v_add_lshl_u32 v6, v3, v0, 0x4                    // scaleToBpe: accumulate d0 lower and *= bpe into Cin addr
v_cndmask_b32 v6, -1, v6, s[64:65]                 // LDD clip if OOB. offset
/* (d1,vc1,d0,vc0)=(14,0,1,0) */
_v_add_co_u32 v4, vcc, v0, 32                      // coord0.1: coord0 += d0*sg0*VW + vc0
v_cmp_lt_u32 s[60:61], v4, s[sgprSizeI]            // coord0 < size0
v_cmp_lt_u32 s[64:65], v1, s[sgprSizeJ]            // coord1 < size1
s_and_b64 s[64:65], s[60:61], s[64:65]             // in0 && in1
_v_add_lshl_u32 v7, v3, v4, 0x4                    // scaleToBpe: accumulate d0 lower and *= bpe into Cin addr
v_cndmask_b32 v7, -1, v7, s[64:65]                 // LDD clip if OOB. offset
v_accvgpr_read_b32 v[vgprValuC+8], acc76 // copy acc to vreg[168]
v_accvgpr_read_b32 v[vgprValuC+9], acc77 // copy acc to vreg[169]
v_accvgpr_read_b32 v[vgprValuC+10], acc172 // copy acc to vreg[170]
v_accvgpr_read_b32 v[vgprValuC+11], acc173 // copy acc to vreg[171]
v_accvgpr_read_b32 v[vgprValuC+12], acc84 // copy acc to vreg[172]
v_accvgpr_read_b32 v[vgprValuC+13], acc85 // copy acc to vreg[173]
v_accvgpr_read_b32 v[vgprValuC+14], acc180 // copy acc to vreg[174]
v_accvgpr_read_b32 v[vgprValuC+15], acc181 // copy acc to vreg[175]
s_nop 1                                            // 2 wait states required before reading vgpr

/* rC *= alpha batchElements=[(14, 0, 0, 0), (14, 1, 0, 0)] */
v_mul_f64 v[16:17], s[sgprAlpha+0:sgprAlpha+0+1], v[vgprValuC+8:vgprValuC+8+1] // 
v_mul_f64 v[18:19], s[sgprAlpha+2:sgprAlpha+2+1], v[vgprValuC+8:vgprValuC+8+1] // 
v_fma_f64 v[vgprValuC+8:vgprValuC+8+1], s[sgprAlpha+2:sgprAlpha+2+1], -v[vgprValuC+10:vgprValuC+10+1], v[16:17]
v_fma_f64 v[vgprValuC+10:vgprValuC+10+1], s[sgprAlpha+0:sgprAlpha+0+1], v[vgprValuC+10:vgprValuC+10+1], v[18:19]
v_mul_f64 v[16:17], s[sgprAlpha+0:sgprAlpha+0+1], v[vgprValuC+12:vgprValuC+12+1] // 
v_mul_f64 v[18:19], s[sgprAlpha+2:sgprAlpha+2+1], v[vgprValuC+12:vgprValuC+12+1] // 
v_fma_f64 v[vgprValuC+12:vgprValuC+12+1], s[sgprAlpha+2:sgprAlpha+2+1], -v[vgprValuC+14:vgprValuC+14+1], v[16:17]
v_fma_f64 v[vgprValuC+14:vgprValuC+14+1], s[sgprAlpha+0:sgprAlpha+0+1], v[vgprValuC+14:vgprValuC+14+1], v[18:19]

/* apply mask, calc new C and issue writes */
_buffer_store_b128 v[8:11], v6, s[sgprSrdD:sgprSrdD+3], 0, offen, offset:0,  nt // store D
_buffer_store_b128 v[12:15], v7, s[sgprSrdD:sgprSrdD+3], 0, offen, offset:0,  nt // store D
s_nop 0                                            // 1 wait state required when next inst writes vgprs held by previous dwordx4 store inst
/* optSingleColVgpr=0 optSharedColVgpr=0 optSGPRUsage=BufferLoad_Edge_Mask optSrdIncForRow=0 */
s_sleep 3 // optimization: sync and wait
s_barrier

/******************************************/
/* Global Write Alpha Edge Batch #22 (d1,d0,vc1,vc0) = */
/*    (14,2,0,0:vw1); (15,0,0,0:vw1)      */
/******************************************/

/* calc coords, apply mask, and issue loads (if necessary) */
/* (d1,vc1,d0,vc0)=(14,0,2,0) */
_v_add_co_u32 v4, vcc, v0, 64                      // coord0.1: coord0 += d0*sg0*VW + vc0
v_cmp_lt_u32 s[60:61], v4, s[sgprSizeI]            // coord0 < size0
v_cmp_lt_u32 s[64:65], v1, s[sgprSizeJ]            // coord1 < size1
s_and_b64 s[64:65], s[60:61], s[64:65]             // in0 && in1
_v_add_lshl_u32 v6, v3, v4, 0x4                    // scaleToBpe: accumulate d0 lower and *= bpe into Cin addr
v_cndmask_b32 v6, -1, v6, s[64:65]                 // LDD clip if OOB. offset
/* (d1,vc1,d0,vc0)=(15,0,0,0) */
_v_add_co_u32 v1, vcc, v1, 4                       // coord1.1: coord1Vgpr += d1*sg1*VW + vc1

/* Fix for UseInitialStridesCD, emitAddressSetupCode */
s_mul_i32 s60, s[sgprStrideC1J], 4                 // scale stride
_v_add_u32 v2, v2, s60                             // ROWINC- Move cinRowPtr to next row
s_mul_i32 s60, s[sgprStrideD1J], 4                 // scale stride
_v_add_u32 v3, v3, s60                             // Move coutRowPtr to next row
v_cmp_lt_u32 s[60:61], v0, s[sgprSizeI]            // coord0 < size0
v_cmp_lt_u32 s[64:65], v1, s[sgprSizeJ]            // coord1 < size1
s_and_b64 s[64:65], s[60:61], s[64:65]             // in0 && in1
_v_add_lshl_u32 v7, v3, v0, 0x4                    // scaleToBpe: accumulate d0 lower and *= bpe into Cin addr
v_cndmask_b32 v7, -1, v7, s[64:65]                 // LDD clip if OOB. offset
v_accvgpr_read_b32 v[vgprValuC+8], acc92 // copy acc to vreg[176]
v_accvgpr_read_b32 v[vgprValuC+9], acc93 // copy acc to vreg[177]
v_accvgpr_read_b32 v[vgprValuC+10], acc188 // copy acc to vreg[178]
v_accvgpr_read_b32 v[vgprValuC+11], acc189 // copy acc to vreg[179]
v_accvgpr_read_b32 v[vgprValuC+12], acc78 // copy acc to vreg[180]
v_accvgpr_read_b32 v[vgprValuC+13], acc79 // copy acc to vreg[181]
v_accvgpr_read_b32 v[vgprValuC+14], acc174 // copy acc to vreg[182]
v_accvgpr_read_b32 v[vgprValuC+15], acc175 // copy acc to vreg[183]
s_nop 1                                            // 2 wait states required before reading vgpr

/* rC *= alpha batchElements=[(14, 2, 0, 0), (15, 0, 0, 0)] */
v_mul_f64 v[16:17], s[sgprAlpha+0:sgprAlpha+0+1], v[vgprValuC+8:vgprValuC+8+1] // 
v_mul_f64 v[18:19], s[sgprAlpha+2:sgprAlpha+2+1], v[vgprValuC+8:vgprValuC+8+1] // 
v_fma_f64 v[vgprValuC+8:vgprValuC+8+1], s[sgprAlpha+2:sgprAlpha+2+1], -v[vgprValuC+10:vgprValuC+10+1], v[16:17]
v_fma_f64 v[vgprValuC+10:vgprValuC+10+1], s[sgprAlpha+0:sgprAlpha+0+1], v[vgprValuC+10:vgprValuC+10+1], v[18:19]
v_mul_f64 v[16:17], s[sgprAlpha+0:sgprAlpha+0+1], v[vgprValuC+12:vgprValuC+12+1] // 
v_mul_f64 v[18:19], s[sgprAlpha+2:sgprAlpha+2+1], v[vgprValuC+12:vgprValuC+12+1] // 
v_fma_f64 v[vgprValuC+12:vgprValuC+12+1], s[sgprAlpha+2:sgprAlpha+2+1], -v[vgprValuC+14:vgprValuC+14+1], v[16:17]
v_fma_f64 v[vgprValuC+14:vgprValuC+14+1], s[sgprAlpha+0:sgprAlpha+0+1], v[vgprValuC+14:vgprValuC+14+1], v[18:19]

/* apply mask, calc new C and issue writes */
_buffer_store_b128 v[8:11], v6, s[sgprSrdD:sgprSrdD+3], 0, offen, offset:0,  nt // store D
_buffer_store_b128 v[12:15], v7, s[sgprSrdD:sgprSrdD+3], 0, offen, offset:0,  nt // store D
s_nop 0                                            // 1 wait state required when next inst writes vgprs held by previous dwordx4 store inst
/* optSingleColVgpr=0 optSharedColVgpr=0 optSGPRUsage=BufferLoad_Edge_Mask optSrdIncForRow=0 */
s_sleep 3 // optimization: sync and wait
s_barrier

/******************************************/
/* Global Write Alpha Edge Batch #23 (d1,d0,vc1,vc0) = */
/*    (15,1,0,0:vw1); (15,2,0,0:vw1)      */
/******************************************/

/* calc coords, apply mask, and issue loads (if necessary) */
/* (d1,vc1,d0,vc0)=(15,0,1,0) */
_v_add_co_u32 v4, vcc, v0, 32                      // coord0.1: coord0 += d0*sg0*VW + vc0
v_cmp_lt_u32 s[60:61], v4, s[sgprSizeI]            // coord0 < size0
v_cmp_lt_u32 s[64:65], v1, s[sgprSizeJ]            // coord1 < size1
s_and_b64 s[64:65], s[60:61], s[64:65]             // in0 && in1
_v_add_lshl_u32 v6, v3, v4, 0x4                    // scaleToBpe: accumulate d0 lower and *= bpe into Cin addr
v_cndmask_b32 v6, -1, v6, s[64:65]                 // LDD clip if OOB. offset
/* (d1,vc1,d0,vc0)=(15,0,2,0) */
_v_add_co_u32 v4, vcc, v0, 64                      // coord0.1: coord0 += d0*sg0*VW + vc0
v_cmp_lt_u32 s[60:61], v4, s[sgprSizeI]            // coord0 < size0
v_cmp_lt_u32 s[64:65], v1, s[sgprSizeJ]            // coord1 < size1
s_and_b64 s[64:65], s[60:61], s[64:65]             // in0 && in1
_v_add_lshl_u32 v7, v3, v4, 0x4                    // scaleToBpe: accumulate d0 lower and *= bpe into Cin addr
v_cndmask_b32 v7, -1, v7, s[64:65]                 // LDD clip if OOB. offset
v_accvgpr_read_b32 v[vgprValuC+8], acc86 // copy acc to vreg[184]
v_accvgpr_read_b32 v[vgprValuC+9], acc87 // copy acc to vreg[185]
v_accvgpr_read_b32 v[vgprValuC+10], acc182 // copy acc to vreg[186]
v_accvgpr_read_b32 v[vgprValuC+11], acc183 // copy acc to vreg[187]
v_accvgpr_read_b32 v[vgprValuC+12], acc94 // copy acc to vreg[188]
v_accvgpr_read_b32 v[vgprValuC+13], acc95 // copy acc to vreg[189]
v_accvgpr_read_b32 v[vgprValuC+14], acc190 // copy acc to vreg[190]
v_accvgpr_read_b32 v[vgprValuC+15], acc191 // copy acc to vreg[191]
s_nop 1                                            // 2 wait states required before reading vgpr

/* rC *= alpha batchElements=[(15, 1, 0, 0), (15, 2, 0, 0)] */
v_mul_f64 v[16:17], s[sgprAlpha+0:sgprAlpha+0+1], v[vgprValuC+8:vgprValuC+8+1] // 
v_mul_f64 v[18:19], s[sgprAlpha+2:sgprAlpha+2+1], v[vgprValuC+8:vgprValuC+8+1] // 
v_fma_f64 v[vgprValuC+8:vgprValuC+8+1], s[sgprAlpha+2:sgprAlpha+2+1], -v[vgprValuC+10:vgprValuC+10+1], v[16:17]
v_fma_f64 v[vgprValuC+10:vgprValuC+10+1], s[sgprAlpha+0:sgprAlpha+0+1], v[vgprValuC+10:vgprValuC+10+1], v[18:19]
v_mul_f64 v[16:17], s[sgprAlpha+0:sgprAlpha+0+1], v[vgprValuC+12:vgprValuC+12+1] // 
v_mul_f64 v[18:19], s[sgprAlpha+2:sgprAlpha+2+1], v[vgprValuC+12:vgprValuC+12+1] // 
v_fma_f64 v[vgprValuC+12:vgprValuC+12+1], s[sgprAlpha+2:sgprAlpha+2+1], -v[vgprValuC+14:vgprValuC+14+1], v[16:17]
v_fma_f64 v[vgprValuC+14:vgprValuC+14+1], s[sgprAlpha+0:sgprAlpha+0+1], v[vgprValuC+14:vgprValuC+14+1], v[18:19]

/* apply mask, calc new C and issue writes */
_buffer_store_b128 v[8:11], v6, s[sgprSrdD:sgprSrdD+3], 0, offen, offset:0,  nt // store D
_buffer_store_b128 v[12:15], v7, s[sgprSrdD:sgprSrdD+3], 0, offen, offset:0,  nt // store D
s_nop 0                                            // 1 wait state required when next inst writes vgprs held by previous dwordx4 store inst
s_branch label_GW_End_44                           // jump to end
GW_Beta_45:
s_mov_b32 s63, 0x0                                 // STATIC_DIV: divisior=96
s_mul_i32 s62, 0x555, s[sgprSizeI]                 // tmp1 = dividend * magic hi
s_lshl_b64 s[62:63], s[62:63], 0x10                // left shift 16 bits
s_mul_i32 s61, s[sgprSizeI], 0x5556                // tmp0 = dividend * magic lo
s_add_u32 s62, s61, s62                            // add lo
s_addc_u32 s63, s63, 0x0                           // add hi
s_lshr_b64 s[62:63], s[62:63], 0x21                // tmp1 = (dividend * magic) << shift
s_mov_b32 s61, s62                                 // quotient
s_mul_i32 s62, s61, 0x60                           // quotient*divisor
s_sub_u32 s60, s[sgprSizeI], s62                   // rReg = dividend - quotient*divisor
s_add_u32 s61, -0x1, s[sgprNumWorkGroups0]         // 
s_cmp_ge_u32 s[sgprWorkGroup0], s61                // wg0 >= nwg0-1 ?
s_cselect_b32 s60, s60, 0                          // set rMT0
s_cmpk_gt_u32 s60, 0x0                             // rMT0 > 0
s_cbranch_scc1 GW_B1_E1_43                         // jump if edges required
s_and_b32 s60, 127, s[sgprSizeJ]                   // s60 = s[sgprSizeJ] % 128
s_add_u32 s61, -0x1, s[sgprNumWorkGroups1]         // 
s_cmp_ge_u32 s[sgprWorkGroup1], s61                // wg1 >= nwg1-1
s_cselect_b32 s60, s60, 0                          // set rMT1
s_cmpk_gt_u32 s60, 0x0                             // rMT1 > 0
s_cbranch_scc1 GW_B1_E1_43                         // jump if edges required
GW_B1_E0_40:

/* edge=0, allocate 2 sgpr. perBatchTmpS=2 perBatchMaskS=0 perElementMaskS=0 elementsPerBatch=2 */
/* optSingleColVgpr=1 optSharedColVgpr=0 optSGPRUsage=BufferLoad_Mask optSrdIncForRow=1 */
s_sleep 3 // optimization: sync and wait
s_barrier

/******************************************/
/* Global Write Alpha Beta Batch #0 (d1,d0,vc1,vc0) = */
/*    (0,0,0,0:vw1); (0,1,0,0:vw1)        */
/******************************************/

/* calc coords, apply mask, and issue loads (if necessary) */
/* (d1,vc1,d0,vc0)=(0,0,0,0) */
_v_add_lshl_u32 v7, v2, v0, 0x4                    // optSingleColVgpr scaleToBpe: sharedAddrVgpr <- cinRowPtr + coord0, scaled by BPE. BSHERE:coord0=0, coord0Vgpr=0
_buffer_load_b128 v[8:11], v7, s[sgprSrdC:sgprSrdC+3], 0, offen offset:0,  nt // load C for beta calc
/* (d1,vc1,d0,vc0)=(0,0,1,0) */
_buffer_load_b128 v[16:19], v7, s[sgprSrdC:sgprSrdC+3], 0, offen offset:512,  nt // load C for beta calc
_v_add_lshl_u32 v6, v3, v0, 0x4                    // optSingleColVgpr scaleToBpe: sharedAddrVgpr <- cinRowPtr + coord0, scaled by BPE. BSHERE:coord0=0, coord0Vgpr=0
s_sleep 3 // optimization: sync and wait
s_barrier
v_accvgpr_read_b32 v[vgprValuC+12], acc0 // copy acc to vreg[0]
v_accvgpr_read_b32 v[vgprValuC+13], acc1 // copy acc to vreg[1]
v_accvgpr_read_b32 v[vgprValuC+14], acc96 // copy acc to vreg[2]
v_accvgpr_read_b32 v[vgprValuC+15], acc97 // copy acc to vreg[3]
v_accvgpr_read_b32 v[vgprValuC+20], acc8 // copy acc to vreg[4]
v_accvgpr_read_b32 v[vgprValuC+21], acc9 // copy acc to vreg[5]
v_accvgpr_read_b32 v[vgprValuC+22], acc104 // copy acc to vreg[6]
v_accvgpr_read_b32 v[vgprValuC+23], acc105 // copy acc to vreg[7]
s_nop 1                                            // 2 wait states required before reading vgpr

/* rC *= alpha batchElements=[(0, 0, 0, 0), (0, 1, 0, 0)] */
v_mul_f64 v[24:25], s[sgprAlpha+0:sgprAlpha+0+1], v[vgprValuC+12:vgprValuC+12+1] // 
v_mul_f64 v[26:27], s[sgprAlpha+2:sgprAlpha+2+1], v[vgprValuC+12:vgprValuC+12+1] // 
v_fma_f64 v[vgprValuC+12:vgprValuC+12+1], s[sgprAlpha+2:sgprAlpha+2+1], -v[vgprValuC+14:vgprValuC+14+1], v[24:25]
v_fma_f64 v[vgprValuC+14:vgprValuC+14+1], s[sgprAlpha+0:sgprAlpha+0+1], v[vgprValuC+14:vgprValuC+14+1], v[26:27]
v_mul_f64 v[24:25], s[sgprAlpha+0:sgprAlpha+0+1], v[vgprValuC+20:vgprValuC+20+1] // 
v_mul_f64 v[26:27], s[sgprAlpha+2:sgprAlpha+2+1], v[vgprValuC+20:vgprValuC+20+1] // 
v_fma_f64 v[vgprValuC+20:vgprValuC+20+1], s[sgprAlpha+2:sgprAlpha+2+1], -v[vgprValuC+22:vgprValuC+22+1], v[24:25]
v_fma_f64 v[vgprValuC+22:vgprValuC+22+1], s[sgprAlpha+0:sgprAlpha+0+1], v[vgprValuC+22:vgprValuC+22+1], v[26:27]

/* apply mask, calc new C and issue writes */

s_waitcnt vmcnt(1)                                 // wait C (interleaved) 1 = 2 - 0 + 0 - 1
v_fma_f64 v[vgprValuC+12:vgprValuC+12+1], v[8:9], s[sgprBeta+0:sgprBeta+0+1], v[vgprValuC+12:vgprValuC+12+1]
v_fma_f64 v[vgprValuC+12:vgprValuC+12+1], v[10:11], -s[sgprBeta+2:sgprBeta+2+1], v[vgprValuC+12:vgprValuC+12+1]
v_fma_f64 v[vgprValuC+14:vgprValuC+14+1], v[8:9], s[sgprBeta+2:sgprBeta+2+1], v[vgprValuC+14:vgprValuC+14+1]
v_fma_f64 v[vgprValuC+14:vgprValuC+14+1], v[10:11], s[sgprBeta+0:sgprBeta+0+1], v[vgprValuC+14:vgprValuC+14+1]
_buffer_store_b128 v[12:15], v6, s[sgprSrdD:sgprSrdD+3], 0, offen, offset:0,  nt // store D

s_waitcnt vmcnt(1)                                 // wait C (interleaved) 1 = 2 - 1 + 1 - 1
v_fma_f64 v[vgprValuC+20:vgprValuC+20+1], v[16:17], s[sgprBeta+0:sgprBeta+0+1], v[vgprValuC+20:vgprValuC+20+1]
v_fma_f64 v[vgprValuC+20:vgprValuC+20+1], v[18:19], -s[sgprBeta+2:sgprBeta+2+1], v[vgprValuC+20:vgprValuC+20+1]
v_fma_f64 v[vgprValuC+22:vgprValuC+22+1], v[16:17], s[sgprBeta+2:sgprBeta+2+1], v[vgprValuC+22:vgprValuC+22+1]
v_fma_f64 v[vgprValuC+22:vgprValuC+22+1], v[18:19], s[sgprBeta+0:sgprBeta+0+1], v[vgprValuC+22:vgprValuC+22+1]
_buffer_store_b128 v[20:23], v6, s[sgprSrdD:sgprSrdD+3], 0, offen, offset:512,  nt // store D
s_nop 0                                            // 1 wait state required when next inst writes vgprs held by previous dwordx4 store inst
/* optSingleColVgpr=1 optSharedColVgpr=0 optSGPRUsage=BufferLoad_Mask optSrdIncForRow=1 */
s_sleep 3 // optimization: sync and wait
s_barrier

/******************************************/
/* Global Write Alpha Beta Batch #1 (d1,d0,vc1,vc0) = */
/*    (0,2,0,0:vw1); (1,0,0,0:vw1)        */
/******************************************/

/* calc coords, apply mask, and issue loads (if necessary) */
/* (d1,vc1,d0,vc0)=(0,0,2,0) */
_buffer_load_b128 v[8:11], v7, s[sgprSrdC:sgprSrdC+3], 0, offen offset:1024,  nt // load C for beta calc
/* (d1,vc1,d0,vc0)=(1,0,0,0) */
s_mul_i32 s60, s[sgprStrideC1J], 64                // scale StrideC *= numRows(4) * bpe
s_add_u32  s[sgprSrdC+0], s[sgprSrdC+0], s60       // incToNextRow: gra SRD += inc(lower)
s_addc_u32  s[sgprSrdC+1], s[sgprSrdC+1], 0        // incToNextRow: gra SRD += inc(upper)
_buffer_load_b128 v[16:19], v7, s[sgprSrdC:sgprSrdC+3], 0, offen offset:0,  nt // load C for beta calc
s_sleep 3 // optimization: sync and wait
s_barrier
v_accvgpr_read_b32 v[vgprValuC+12], acc16 // copy acc to vreg[8]
v_accvgpr_read_b32 v[vgprValuC+13], acc17 // copy acc to vreg[9]
v_accvgpr_read_b32 v[vgprValuC+14], acc112 // copy acc to vreg[10]
v_accvgpr_read_b32 v[vgprValuC+15], acc113 // copy acc to vreg[11]
v_accvgpr_read_b32 v[vgprValuC+20], acc2 // copy acc to vreg[12]
v_accvgpr_read_b32 v[vgprValuC+21], acc3 // copy acc to vreg[13]
v_accvgpr_read_b32 v[vgprValuC+22], acc98 // copy acc to vreg[14]
v_accvgpr_read_b32 v[vgprValuC+23], acc99 // copy acc to vreg[15]
s_nop 1                                            // 2 wait states required before reading vgpr

/* rC *= alpha batchElements=[(0, 2, 0, 0), (1, 0, 0, 0)] */
v_mul_f64 v[24:25], s[sgprAlpha+0:sgprAlpha+0+1], v[vgprValuC+12:vgprValuC+12+1] // 
v_mul_f64 v[26:27], s[sgprAlpha+2:sgprAlpha+2+1], v[vgprValuC+12:vgprValuC+12+1] // 
v_fma_f64 v[vgprValuC+12:vgprValuC+12+1], s[sgprAlpha+2:sgprAlpha+2+1], -v[vgprValuC+14:vgprValuC+14+1], v[24:25]
v_fma_f64 v[vgprValuC+14:vgprValuC+14+1], s[sgprAlpha+0:sgprAlpha+0+1], v[vgprValuC+14:vgprValuC+14+1], v[26:27]
v_mul_f64 v[24:25], s[sgprAlpha+0:sgprAlpha+0+1], v[vgprValuC+20:vgprValuC+20+1] // 
v_mul_f64 v[26:27], s[sgprAlpha+2:sgprAlpha+2+1], v[vgprValuC+20:vgprValuC+20+1] // 
v_fma_f64 v[vgprValuC+20:vgprValuC+20+1], s[sgprAlpha+2:sgprAlpha+2+1], -v[vgprValuC+22:vgprValuC+22+1], v[24:25]
v_fma_f64 v[vgprValuC+22:vgprValuC+22+1], s[sgprAlpha+0:sgprAlpha+0+1], v[vgprValuC+22:vgprValuC+22+1], v[26:27]

/* apply mask, calc new C and issue writes */

s_waitcnt vmcnt(1)                                 // wait C (interleaved) 1 = 2 - 0 + 0 - 1
v_fma_f64 v[vgprValuC+12:vgprValuC+12+1], v[8:9], s[sgprBeta+0:sgprBeta+0+1], v[vgprValuC+12:vgprValuC+12+1]
v_fma_f64 v[vgprValuC+12:vgprValuC+12+1], v[10:11], -s[sgprBeta+2:sgprBeta+2+1], v[vgprValuC+12:vgprValuC+12+1]
v_fma_f64 v[vgprValuC+14:vgprValuC+14+1], v[8:9], s[sgprBeta+2:sgprBeta+2+1], v[vgprValuC+14:vgprValuC+14+1]
v_fma_f64 v[vgprValuC+14:vgprValuC+14+1], v[10:11], s[sgprBeta+0:sgprBeta+0+1], v[vgprValuC+14:vgprValuC+14+1]
_buffer_store_b128 v[12:15], v6, s[sgprSrdD:sgprSrdD+3], 0, offen, offset:1024,  nt // store D

s_waitcnt vmcnt(1)                                 // wait C (interleaved) 1 = 2 - 1 + 1 - 1
v_fma_f64 v[vgprValuC+20:vgprValuC+20+1], v[16:17], s[sgprBeta+0:sgprBeta+0+1], v[vgprValuC+20:vgprValuC+20+1]
v_fma_f64 v[vgprValuC+20:vgprValuC+20+1], v[18:19], -s[sgprBeta+2:sgprBeta+2+1], v[vgprValuC+20:vgprValuC+20+1]
v_fma_f64 v[vgprValuC+22:vgprValuC+22+1], v[16:17], s[sgprBeta+2:sgprBeta+2+1], v[vgprValuC+22:vgprValuC+22+1]
v_fma_f64 v[vgprValuC+22:vgprValuC+22+1], v[18:19], s[sgprBeta+0:sgprBeta+0+1], v[vgprValuC+22:vgprValuC+22+1]
s_mul_i32 s60, s[sgprStrideD1J], 64                // scale StrideD *= numRows(4) * bpe
s_add_u32  s[sgprSrdD+0], s[sgprSrdD+0], s60       // incToNextRow: gra SRD += inc(lower)
s_addc_u32  s[sgprSrdD+1], s[sgprSrdD+1], 0        // incToNextRow: gra SRD += inc(upper)
_buffer_store_b128 v[20:23], v6, s[sgprSrdD:sgprSrdD+3], 0, offen, offset:0,  nt // store D
s_nop 0                                            // 1 wait state required when next inst writes vgprs held by previous dwordx4 store inst
/* optSingleColVgpr=1 optSharedColVgpr=0 optSGPRUsage=BufferLoad_Mask optSrdIncForRow=1 */
s_sleep 3 // optimization: sync and wait
s_barrier

/******************************************/
/* Global Write Alpha Beta Batch #2 (d1,d0,vc1,vc0) = */
/*    (1,1,0,0:vw1); (1,2,0,0:vw1)        */
/******************************************/

/* calc coords, apply mask, and issue loads (if necessary) */
/* (d1,vc1,d0,vc0)=(1,0,1,0) */
_buffer_load_b128 v[8:11], v7, s[sgprSrdC:sgprSrdC+3], 0, offen offset:512,  nt // load C for beta calc
/* (d1,vc1,d0,vc0)=(1,0,2,0) */
_buffer_load_b128 v[16:19], v7, s[sgprSrdC:sgprSrdC+3], 0, offen offset:1024,  nt // load C for beta calc
s_sleep 3 // optimization: sync and wait
s_barrier
v_accvgpr_read_b32 v[vgprValuC+12], acc10 // copy acc to vreg[16]
v_accvgpr_read_b32 v[vgprValuC+13], acc11 // copy acc to vreg[17]
v_accvgpr_read_b32 v[vgprValuC+14], acc106 // copy acc to vreg[18]
v_accvgpr_read_b32 v[vgprValuC+15], acc107 // copy acc to vreg[19]
v_accvgpr_read_b32 v[vgprValuC+20], acc18 // copy acc to vreg[20]
v_accvgpr_read_b32 v[vgprValuC+21], acc19 // copy acc to vreg[21]
v_accvgpr_read_b32 v[vgprValuC+22], acc114 // copy acc to vreg[22]
v_accvgpr_read_b32 v[vgprValuC+23], acc115 // copy acc to vreg[23]
s_nop 1                                            // 2 wait states required before reading vgpr

/* rC *= alpha batchElements=[(1, 1, 0, 0), (1, 2, 0, 0)] */
v_mul_f64 v[24:25], s[sgprAlpha+0:sgprAlpha+0+1], v[vgprValuC+12:vgprValuC+12+1] // 
v_mul_f64 v[26:27], s[sgprAlpha+2:sgprAlpha+2+1], v[vgprValuC+12:vgprValuC+12+1] // 
v_fma_f64 v[vgprValuC+12:vgprValuC+12+1], s[sgprAlpha+2:sgprAlpha+2+1], -v[vgprValuC+14:vgprValuC+14+1], v[24:25]
v_fma_f64 v[vgprValuC+14:vgprValuC+14+1], s[sgprAlpha+0:sgprAlpha+0+1], v[vgprValuC+14:vgprValuC+14+1], v[26:27]
v_mul_f64 v[24:25], s[sgprAlpha+0:sgprAlpha+0+1], v[vgprValuC+20:vgprValuC+20+1] // 
v_mul_f64 v[26:27], s[sgprAlpha+2:sgprAlpha+2+1], v[vgprValuC+20:vgprValuC+20+1] // 
v_fma_f64 v[vgprValuC+20:vgprValuC+20+1], s[sgprAlpha+2:sgprAlpha+2+1], -v[vgprValuC+22:vgprValuC+22+1], v[24:25]
v_fma_f64 v[vgprValuC+22:vgprValuC+22+1], s[sgprAlpha+0:sgprAlpha+0+1], v[vgprValuC+22:vgprValuC+22+1], v[26:27]

/* apply mask, calc new C and issue writes */

s_waitcnt vmcnt(1)                                 // wait C (interleaved) 1 = 2 - 0 + 0 - 1
v_fma_f64 v[vgprValuC+12:vgprValuC+12+1], v[8:9], s[sgprBeta+0:sgprBeta+0+1], v[vgprValuC+12:vgprValuC+12+1]
v_fma_f64 v[vgprValuC+12:vgprValuC+12+1], v[10:11], -s[sgprBeta+2:sgprBeta+2+1], v[vgprValuC+12:vgprValuC+12+1]
v_fma_f64 v[vgprValuC+14:vgprValuC+14+1], v[8:9], s[sgprBeta+2:sgprBeta+2+1], v[vgprValuC+14:vgprValuC+14+1]
v_fma_f64 v[vgprValuC+14:vgprValuC+14+1], v[10:11], s[sgprBeta+0:sgprBeta+0+1], v[vgprValuC+14:vgprValuC+14+1]
_buffer_store_b128 v[12:15], v6, s[sgprSrdD:sgprSrdD+3], 0, offen, offset:512,  nt // store D

s_waitcnt vmcnt(1)                                 // wait C (interleaved) 1 = 2 - 1 + 1 - 1
v_fma_f64 v[vgprValuC+20:vgprValuC+20+1], v[16:17], s[sgprBeta+0:sgprBeta+0+1], v[vgprValuC+20:vgprValuC+20+1]
v_fma_f64 v[vgprValuC+20:vgprValuC+20+1], v[18:19], -s[sgprBeta+2:sgprBeta+2+1], v[vgprValuC+20:vgprValuC+20+1]
v_fma_f64 v[vgprValuC+22:vgprValuC+22+1], v[16:17], s[sgprBeta+2:sgprBeta+2+1], v[vgprValuC+22:vgprValuC+22+1]
v_fma_f64 v[vgprValuC+22:vgprValuC+22+1], v[18:19], s[sgprBeta+0:sgprBeta+0+1], v[vgprValuC+22:vgprValuC+22+1]
_buffer_store_b128 v[20:23], v6, s[sgprSrdD:sgprSrdD+3], 0, offen, offset:1024,  nt // store D
s_nop 0                                            // 1 wait state required when next inst writes vgprs held by previous dwordx4 store inst
/* optSingleColVgpr=1 optSharedColVgpr=0 optSGPRUsage=BufferLoad_Mask optSrdIncForRow=1 */
s_sleep 3 // optimization: sync and wait
s_barrier

/******************************************/
/* Global Write Alpha Beta Batch #3 (d1,d0,vc1,vc0) = */
/*    (2,0,0,0:vw1); (2,1,0,0:vw1)        */
/******************************************/

/* calc coords, apply mask, and issue loads (if necessary) */
/* (d1,vc1,d0,vc0)=(2,0,0,0) */
s_mul_i32 s60, s[sgprStrideC1J], 64                // scale StrideC *= numRows(4) * bpe
s_add_u32  s[sgprSrdC+0], s[sgprSrdC+0], s60       // incToNextRow: gra SRD += inc(lower)
s_addc_u32  s[sgprSrdC+1], s[sgprSrdC+1], 0        // incToNextRow: gra SRD += inc(upper)
_buffer_load_b128 v[8:11], v7, s[sgprSrdC:sgprSrdC+3], 0, offen offset:0,  nt // load C for beta calc
/* (d1,vc1,d0,vc0)=(2,0,1,0) */
_buffer_load_b128 v[16:19], v7, s[sgprSrdC:sgprSrdC+3], 0, offen offset:512,  nt // load C for beta calc
s_sleep 3 // optimization: sync and wait
s_barrier
v_accvgpr_read_b32 v[vgprValuC+12], acc4 // copy acc to vreg[24]
v_accvgpr_read_b32 v[vgprValuC+13], acc5 // copy acc to vreg[25]
v_accvgpr_read_b32 v[vgprValuC+14], acc100 // copy acc to vreg[26]
v_accvgpr_read_b32 v[vgprValuC+15], acc101 // copy acc to vreg[27]
v_accvgpr_read_b32 v[vgprValuC+20], acc12 // copy acc to vreg[28]
v_accvgpr_read_b32 v[vgprValuC+21], acc13 // copy acc to vreg[29]
v_accvgpr_read_b32 v[vgprValuC+22], acc108 // copy acc to vreg[30]
v_accvgpr_read_b32 v[vgprValuC+23], acc109 // copy acc to vreg[31]
s_nop 1                                            // 2 wait states required before reading vgpr

/* rC *= alpha batchElements=[(2, 0, 0, 0), (2, 1, 0, 0)] */
v_mul_f64 v[24:25], s[sgprAlpha+0:sgprAlpha+0+1], v[vgprValuC+12:vgprValuC+12+1] // 
v_mul_f64 v[26:27], s[sgprAlpha+2:sgprAlpha+2+1], v[vgprValuC+12:vgprValuC+12+1] // 
v_fma_f64 v[vgprValuC+12:vgprValuC+12+1], s[sgprAlpha+2:sgprAlpha+2+1], -v[vgprValuC+14:vgprValuC+14+1], v[24:25]
v_fma_f64 v[vgprValuC+14:vgprValuC+14+1], s[sgprAlpha+0:sgprAlpha+0+1], v[vgprValuC+14:vgprValuC+14+1], v[26:27]
v_mul_f64 v[24:25], s[sgprAlpha+0:sgprAlpha+0+1], v[vgprValuC+20:vgprValuC+20+1] // 
v_mul_f64 v[26:27], s[sgprAlpha+2:sgprAlpha+2+1], v[vgprValuC+20:vgprValuC+20+1] // 
v_fma_f64 v[vgprValuC+20:vgprValuC+20+1], s[sgprAlpha+2:sgprAlpha+2+1], -v[vgprValuC+22:vgprValuC+22+1], v[24:25]
v_fma_f64 v[vgprValuC+22:vgprValuC+22+1], s[sgprAlpha+0:sgprAlpha+0+1], v[vgprValuC+22:vgprValuC+22+1], v[26:27]

/* apply mask, calc new C and issue writes */

s_waitcnt vmcnt(1)                                 // wait C (interleaved) 1 = 2 - 0 + 0 - 1
v_fma_f64 v[vgprValuC+12:vgprValuC+12+1], v[8:9], s[sgprBeta+0:sgprBeta+0+1], v[vgprValuC+12:vgprValuC+12+1]
v_fma_f64 v[vgprValuC+12:vgprValuC+12+1], v[10:11], -s[sgprBeta+2:sgprBeta+2+1], v[vgprValuC+12:vgprValuC+12+1]
v_fma_f64 v[vgprValuC+14:vgprValuC+14+1], v[8:9], s[sgprBeta+2:sgprBeta+2+1], v[vgprValuC+14:vgprValuC+14+1]
v_fma_f64 v[vgprValuC+14:vgprValuC+14+1], v[10:11], s[sgprBeta+0:sgprBeta+0+1], v[vgprValuC+14:vgprValuC+14+1]
s_mul_i32 s60, s[sgprStrideD1J], 64                // scale StrideD *= numRows(4) * bpe
s_add_u32  s[sgprSrdD+0], s[sgprSrdD+0], s60       // incToNextRow: gra SRD += inc(lower)
s_addc_u32  s[sgprSrdD+1], s[sgprSrdD+1], 0        // incToNextRow: gra SRD += inc(upper)
_buffer_store_b128 v[12:15], v6, s[sgprSrdD:sgprSrdD+3], 0, offen, offset:0,  nt // store D

s_waitcnt vmcnt(1)                                 // wait C (interleaved) 1 = 2 - 1 + 1 - 1
v_fma_f64 v[vgprValuC+20:vgprValuC+20+1], v[16:17], s[sgprBeta+0:sgprBeta+0+1], v[vgprValuC+20:vgprValuC+20+1]
v_fma_f64 v[vgprValuC+20:vgprValuC+20+1], v[18:19], -s[sgprBeta+2:sgprBeta+2+1], v[vgprValuC+20:vgprValuC+20+1]
v_fma_f64 v[vgprValuC+22:vgprValuC+22+1], v[16:17], s[sgprBeta+2:sgprBeta+2+1], v[vgprValuC+22:vgprValuC+22+1]
v_fma_f64 v[vgprValuC+22:vgprValuC+22+1], v[18:19], s[sgprBeta+0:sgprBeta+0+1], v[vgprValuC+22:vgprValuC+22+1]
_buffer_store_b128 v[20:23], v6, s[sgprSrdD:sgprSrdD+3], 0, offen, offset:512,  nt // store D
s_nop 0                                            // 1 wait state required when next inst writes vgprs held by previous dwordx4 store inst
/* optSingleColVgpr=1 optSharedColVgpr=0 optSGPRUsage=BufferLoad_Mask optSrdIncForRow=1 */
s_sleep 3 // optimization: sync and wait
s_barrier

/******************************************/
/* Global Write Alpha Beta Batch #4 (d1,d0,vc1,vc0) = */
/*    (2,2,0,0:vw1); (3,0,0,0:vw1)        */
/******************************************/

/* calc coords, apply mask, and issue loads (if necessary) */
/* (d1,vc1,d0,vc0)=(2,0,2,0) */
_buffer_load_b128 v[8:11], v7, s[sgprSrdC:sgprSrdC+3], 0, offen offset:1024,  nt // load C for beta calc
/* (d1,vc1,d0,vc0)=(3,0,0,0) */
s_mul_i32 s60, s[sgprStrideC1J], 64                // scale StrideC *= numRows(4) * bpe
s_add_u32  s[sgprSrdC+0], s[sgprSrdC+0], s60       // incToNextRow: gra SRD += inc(lower)
s_addc_u32  s[sgprSrdC+1], s[sgprSrdC+1], 0        // incToNextRow: gra SRD += inc(upper)
_buffer_load_b128 v[16:19], v7, s[sgprSrdC:sgprSrdC+3], 0, offen offset:0,  nt // load C for beta calc
s_sleep 3 // optimization: sync and wait
s_barrier
v_accvgpr_read_b32 v[vgprValuC+12], acc20 // copy acc to vreg[32]
v_accvgpr_read_b32 v[vgprValuC+13], acc21 // copy acc to vreg[33]
v_accvgpr_read_b32 v[vgprValuC+14], acc116 // copy acc to vreg[34]
v_accvgpr_read_b32 v[vgprValuC+15], acc117 // copy acc to vreg[35]
v_accvgpr_read_b32 v[vgprValuC+20], acc6 // copy acc to vreg[36]
v_accvgpr_read_b32 v[vgprValuC+21], acc7 // copy acc to vreg[37]
v_accvgpr_read_b32 v[vgprValuC+22], acc102 // copy acc to vreg[38]
v_accvgpr_read_b32 v[vgprValuC+23], acc103 // copy acc to vreg[39]
s_nop 1                                            // 2 wait states required before reading vgpr

/* rC *= alpha batchElements=[(2, 2, 0, 0), (3, 0, 0, 0)] */
v_mul_f64 v[24:25], s[sgprAlpha+0:sgprAlpha+0+1], v[vgprValuC+12:vgprValuC+12+1] // 
v_mul_f64 v[26:27], s[sgprAlpha+2:sgprAlpha+2+1], v[vgprValuC+12:vgprValuC+12+1] // 
v_fma_f64 v[vgprValuC+12:vgprValuC+12+1], s[sgprAlpha+2:sgprAlpha+2+1], -v[vgprValuC+14:vgprValuC+14+1], v[24:25]
v_fma_f64 v[vgprValuC+14:vgprValuC+14+1], s[sgprAlpha+0:sgprAlpha+0+1], v[vgprValuC+14:vgprValuC+14+1], v[26:27]
v_mul_f64 v[24:25], s[sgprAlpha+0:sgprAlpha+0+1], v[vgprValuC+20:vgprValuC+20+1] // 
v_mul_f64 v[26:27], s[sgprAlpha+2:sgprAlpha+2+1], v[vgprValuC+20:vgprValuC+20+1] // 
v_fma_f64 v[vgprValuC+20:vgprValuC+20+1], s[sgprAlpha+2:sgprAlpha+2+1], -v[vgprValuC+22:vgprValuC+22+1], v[24:25]
v_fma_f64 v[vgprValuC+22:vgprValuC+22+1], s[sgprAlpha+0:sgprAlpha+0+1], v[vgprValuC+22:vgprValuC+22+1], v[26:27]

/* apply mask, calc new C and issue writes */

s_waitcnt vmcnt(1)                                 // wait C (interleaved) 1 = 2 - 0 + 0 - 1
v_fma_f64 v[vgprValuC+12:vgprValuC+12+1], v[8:9], s[sgprBeta+0:sgprBeta+0+1], v[vgprValuC+12:vgprValuC+12+1]
v_fma_f64 v[vgprValuC+12:vgprValuC+12+1], v[10:11], -s[sgprBeta+2:sgprBeta+2+1], v[vgprValuC+12:vgprValuC+12+1]
v_fma_f64 v[vgprValuC+14:vgprValuC+14+1], v[8:9], s[sgprBeta+2:sgprBeta+2+1], v[vgprValuC+14:vgprValuC+14+1]
v_fma_f64 v[vgprValuC+14:vgprValuC+14+1], v[10:11], s[sgprBeta+0:sgprBeta+0+1], v[vgprValuC+14:vgprValuC+14+1]
_buffer_store_b128 v[12:15], v6, s[sgprSrdD:sgprSrdD+3], 0, offen, offset:1024,  nt // store D

s_waitcnt vmcnt(1)                                 // wait C (interleaved) 1 = 2 - 1 + 1 - 1
v_fma_f64 v[vgprValuC+20:vgprValuC+20+1], v[16:17], s[sgprBeta+0:sgprBeta+0+1], v[vgprValuC+20:vgprValuC+20+1]
v_fma_f64 v[vgprValuC+20:vgprValuC+20+1], v[18:19], -s[sgprBeta+2:sgprBeta+2+1], v[vgprValuC+20:vgprValuC+20+1]
v_fma_f64 v[vgprValuC+22:vgprValuC+22+1], v[16:17], s[sgprBeta+2:sgprBeta+2+1], v[vgprValuC+22:vgprValuC+22+1]
v_fma_f64 v[vgprValuC+22:vgprValuC+22+1], v[18:19], s[sgprBeta+0:sgprBeta+0+1], v[vgprValuC+22:vgprValuC+22+1]
s_mul_i32 s60, s[sgprStrideD1J], 64                // scale StrideD *= numRows(4) * bpe
s_add_u32  s[sgprSrdD+0], s[sgprSrdD+0], s60       // incToNextRow: gra SRD += inc(lower)
s_addc_u32  s[sgprSrdD+1], s[sgprSrdD+1], 0        // incToNextRow: gra SRD += inc(upper)
_buffer_store_b128 v[20:23], v6, s[sgprSrdD:sgprSrdD+3], 0, offen, offset:0,  nt // store D
s_nop 0                                            // 1 wait state required when next inst writes vgprs held by previous dwordx4 store inst
/* optSingleColVgpr=1 optSharedColVgpr=0 optSGPRUsage=BufferLoad_Mask optSrdIncForRow=1 */
s_sleep 3 // optimization: sync and wait
s_barrier

/******************************************/
/* Global Write Alpha Beta Batch #5 (d1,d0,vc1,vc0) = */
/*    (3,1,0,0:vw1); (3,2,0,0:vw1)        */
/******************************************/

/* calc coords, apply mask, and issue loads (if necessary) */
/* (d1,vc1,d0,vc0)=(3,0,1,0) */
_buffer_load_b128 v[8:11], v7, s[sgprSrdC:sgprSrdC+3], 0, offen offset:512,  nt // load C for beta calc
/* (d1,vc1,d0,vc0)=(3,0,2,0) */
_buffer_load_b128 v[16:19], v7, s[sgprSrdC:sgprSrdC+3], 0, offen offset:1024,  nt // load C for beta calc
s_sleep 3 // optimization: sync and wait
s_barrier
v_accvgpr_read_b32 v[vgprValuC+12], acc14 // copy acc to vreg[40]
v_accvgpr_read_b32 v[vgprValuC+13], acc15 // copy acc to vreg[41]
v_accvgpr_read_b32 v[vgprValuC+14], acc110 // copy acc to vreg[42]
v_accvgpr_read_b32 v[vgprValuC+15], acc111 // copy acc to vreg[43]
v_accvgpr_read_b32 v[vgprValuC+20], acc22 // copy acc to vreg[44]
v_accvgpr_read_b32 v[vgprValuC+21], acc23 // copy acc to vreg[45]
v_accvgpr_read_b32 v[vgprValuC+22], acc118 // copy acc to vreg[46]
v_accvgpr_read_b32 v[vgprValuC+23], acc119 // copy acc to vreg[47]
s_nop 1                                            // 2 wait states required before reading vgpr

/* rC *= alpha batchElements=[(3, 1, 0, 0), (3, 2, 0, 0)] */
v_mul_f64 v[24:25], s[sgprAlpha+0:sgprAlpha+0+1], v[vgprValuC+12:vgprValuC+12+1] // 
v_mul_f64 v[26:27], s[sgprAlpha+2:sgprAlpha+2+1], v[vgprValuC+12:vgprValuC+12+1] // 
v_fma_f64 v[vgprValuC+12:vgprValuC+12+1], s[sgprAlpha+2:sgprAlpha+2+1], -v[vgprValuC+14:vgprValuC+14+1], v[24:25]
v_fma_f64 v[vgprValuC+14:vgprValuC+14+1], s[sgprAlpha+0:sgprAlpha+0+1], v[vgprValuC+14:vgprValuC+14+1], v[26:27]
v_mul_f64 v[24:25], s[sgprAlpha+0:sgprAlpha+0+1], v[vgprValuC+20:vgprValuC+20+1] // 
v_mul_f64 v[26:27], s[sgprAlpha+2:sgprAlpha+2+1], v[vgprValuC+20:vgprValuC+20+1] // 
v_fma_f64 v[vgprValuC+20:vgprValuC+20+1], s[sgprAlpha+2:sgprAlpha+2+1], -v[vgprValuC+22:vgprValuC+22+1], v[24:25]
v_fma_f64 v[vgprValuC+22:vgprValuC+22+1], s[sgprAlpha+0:sgprAlpha+0+1], v[vgprValuC+22:vgprValuC+22+1], v[26:27]

/* apply mask, calc new C and issue writes */

s_waitcnt vmcnt(1)                                 // wait C (interleaved) 1 = 2 - 0 + 0 - 1
v_fma_f64 v[vgprValuC+12:vgprValuC+12+1], v[8:9], s[sgprBeta+0:sgprBeta+0+1], v[vgprValuC+12:vgprValuC+12+1]
v_fma_f64 v[vgprValuC+12:vgprValuC+12+1], v[10:11], -s[sgprBeta+2:sgprBeta+2+1], v[vgprValuC+12:vgprValuC+12+1]
v_fma_f64 v[vgprValuC+14:vgprValuC+14+1], v[8:9], s[sgprBeta+2:sgprBeta+2+1], v[vgprValuC+14:vgprValuC+14+1]
v_fma_f64 v[vgprValuC+14:vgprValuC+14+1], v[10:11], s[sgprBeta+0:sgprBeta+0+1], v[vgprValuC+14:vgprValuC+14+1]
_buffer_store_b128 v[12:15], v6, s[sgprSrdD:sgprSrdD+3], 0, offen, offset:512,  nt // store D

s_waitcnt vmcnt(1)                                 // wait C (interleaved) 1 = 2 - 1 + 1 - 1
v_fma_f64 v[vgprValuC+20:vgprValuC+20+1], v[16:17], s[sgprBeta+0:sgprBeta+0+1], v[vgprValuC+20:vgprValuC+20+1]
v_fma_f64 v[vgprValuC+20:vgprValuC+20+1], v[18:19], -s[sgprBeta+2:sgprBeta+2+1], v[vgprValuC+20:vgprValuC+20+1]
v_fma_f64 v[vgprValuC+22:vgprValuC+22+1], v[16:17], s[sgprBeta+2:sgprBeta+2+1], v[vgprValuC+22:vgprValuC+22+1]
v_fma_f64 v[vgprValuC+22:vgprValuC+22+1], v[18:19], s[sgprBeta+0:sgprBeta+0+1], v[vgprValuC+22:vgprValuC+22+1]
_buffer_store_b128 v[20:23], v6, s[sgprSrdD:sgprSrdD+3], 0, offen, offset:1024,  nt // store D
s_nop 0                                            // 1 wait state required when next inst writes vgprs held by previous dwordx4 store inst
/* optSingleColVgpr=1 optSharedColVgpr=0 optSGPRUsage=BufferLoad_Mask optSrdIncForRow=1 */
s_sleep 3 // optimization: sync and wait
s_barrier

/******************************************/
/* Global Write Alpha Beta Batch #6 (d1,d0,vc1,vc0) = */
/*    (4,0,0,0:vw1); (4,1,0,0:vw1)        */
/******************************************/

/* calc coords, apply mask, and issue loads (if necessary) */
/* (d1,vc1,d0,vc0)=(4,0,0,0) */
s_mul_i32 s60, s[sgprStrideC1J], 320               // scale StrideC *= numRows(20) * bpe
s_add_u32  s[sgprSrdC+0], s[sgprSrdC+0], s60       // incToNextRow: gra SRD += inc(lower)
s_addc_u32  s[sgprSrdC+1], s[sgprSrdC+1], 0        // incToNextRow: gra SRD += inc(upper)
_buffer_load_b128 v[8:11], v7, s[sgprSrdC:sgprSrdC+3], 0, offen offset:0,  nt // load C for beta calc
/* (d1,vc1,d0,vc0)=(4,0,1,0) */
_buffer_load_b128 v[16:19], v7, s[sgprSrdC:sgprSrdC+3], 0, offen offset:512,  nt // load C for beta calc
s_sleep 3 // optimization: sync and wait
s_barrier
v_accvgpr_read_b32 v[vgprValuC+12], acc24 // copy acc to vreg[48]
v_accvgpr_read_b32 v[vgprValuC+13], acc25 // copy acc to vreg[49]
v_accvgpr_read_b32 v[vgprValuC+14], acc120 // copy acc to vreg[50]
v_accvgpr_read_b32 v[vgprValuC+15], acc121 // copy acc to vreg[51]
v_accvgpr_read_b32 v[vgprValuC+20], acc32 // copy acc to vreg[52]
v_accvgpr_read_b32 v[vgprValuC+21], acc33 // copy acc to vreg[53]
v_accvgpr_read_b32 v[vgprValuC+22], acc128 // copy acc to vreg[54]
v_accvgpr_read_b32 v[vgprValuC+23], acc129 // copy acc to vreg[55]
s_nop 1                                            // 2 wait states required before reading vgpr

/* rC *= alpha batchElements=[(4, 0, 0, 0), (4, 1, 0, 0)] */
v_mul_f64 v[24:25], s[sgprAlpha+0:sgprAlpha+0+1], v[vgprValuC+12:vgprValuC+12+1] // 
v_mul_f64 v[26:27], s[sgprAlpha+2:sgprAlpha+2+1], v[vgprValuC+12:vgprValuC+12+1] // 
v_fma_f64 v[vgprValuC+12:vgprValuC+12+1], s[sgprAlpha+2:sgprAlpha+2+1], -v[vgprValuC+14:vgprValuC+14+1], v[24:25]
v_fma_f64 v[vgprValuC+14:vgprValuC+14+1], s[sgprAlpha+0:sgprAlpha+0+1], v[vgprValuC+14:vgprValuC+14+1], v[26:27]
v_mul_f64 v[24:25], s[sgprAlpha+0:sgprAlpha+0+1], v[vgprValuC+20:vgprValuC+20+1] // 
v_mul_f64 v[26:27], s[sgprAlpha+2:sgprAlpha+2+1], v[vgprValuC+20:vgprValuC+20+1] // 
v_fma_f64 v[vgprValuC+20:vgprValuC+20+1], s[sgprAlpha+2:sgprAlpha+2+1], -v[vgprValuC+22:vgprValuC+22+1], v[24:25]
v_fma_f64 v[vgprValuC+22:vgprValuC+22+1], s[sgprAlpha+0:sgprAlpha+0+1], v[vgprValuC+22:vgprValuC+22+1], v[26:27]

/* apply mask, calc new C and issue writes */

s_waitcnt vmcnt(1)                                 // wait C (interleaved) 1 = 2 - 0 + 0 - 1
v_fma_f64 v[vgprValuC+12:vgprValuC+12+1], v[8:9], s[sgprBeta+0:sgprBeta+0+1], v[vgprValuC+12:vgprValuC+12+1]
v_fma_f64 v[vgprValuC+12:vgprValuC+12+1], v[10:11], -s[sgprBeta+2:sgprBeta+2+1], v[vgprValuC+12:vgprValuC+12+1]
v_fma_f64 v[vgprValuC+14:vgprValuC+14+1], v[8:9], s[sgprBeta+2:sgprBeta+2+1], v[vgprValuC+14:vgprValuC+14+1]
v_fma_f64 v[vgprValuC+14:vgprValuC+14+1], v[10:11], s[sgprBeta+0:sgprBeta+0+1], v[vgprValuC+14:vgprValuC+14+1]
s_mul_i32 s60, s[sgprStrideD1J], 320               // scale StrideD *= numRows(20) * bpe
s_add_u32  s[sgprSrdD+0], s[sgprSrdD+0], s60       // incToNextRow: gra SRD += inc(lower)
s_addc_u32  s[sgprSrdD+1], s[sgprSrdD+1], 0        // incToNextRow: gra SRD += inc(upper)
_buffer_store_b128 v[12:15], v6, s[sgprSrdD:sgprSrdD+3], 0, offen, offset:0,  nt // store D

s_waitcnt vmcnt(1)                                 // wait C (interleaved) 1 = 2 - 1 + 1 - 1
v_fma_f64 v[vgprValuC+20:vgprValuC+20+1], v[16:17], s[sgprBeta+0:sgprBeta+0+1], v[vgprValuC+20:vgprValuC+20+1]
v_fma_f64 v[vgprValuC+20:vgprValuC+20+1], v[18:19], -s[sgprBeta+2:sgprBeta+2+1], v[vgprValuC+20:vgprValuC+20+1]
v_fma_f64 v[vgprValuC+22:vgprValuC+22+1], v[16:17], s[sgprBeta+2:sgprBeta+2+1], v[vgprValuC+22:vgprValuC+22+1]
v_fma_f64 v[vgprValuC+22:vgprValuC+22+1], v[18:19], s[sgprBeta+0:sgprBeta+0+1], v[vgprValuC+22:vgprValuC+22+1]
_buffer_store_b128 v[20:23], v6, s[sgprSrdD:sgprSrdD+3], 0, offen, offset:512,  nt // store D
s_nop 0                                            // 1 wait state required when next inst writes vgprs held by previous dwordx4 store inst
/* optSingleColVgpr=1 optSharedColVgpr=0 optSGPRUsage=BufferLoad_Mask optSrdIncForRow=1 */
s_sleep 3 // optimization: sync and wait
s_barrier

/******************************************/
/* Global Write Alpha Beta Batch #7 (d1,d0,vc1,vc0) = */
/*    (4,2,0,0:vw1); (5,0,0,0:vw1)        */
/******************************************/

/* calc coords, apply mask, and issue loads (if necessary) */
/* (d1,vc1,d0,vc0)=(4,0,2,0) */
_buffer_load_b128 v[8:11], v7, s[sgprSrdC:sgprSrdC+3], 0, offen offset:1024,  nt // load C for beta calc
/* (d1,vc1,d0,vc0)=(5,0,0,0) */
s_mul_i32 s60, s[sgprStrideC1J], 64                // scale StrideC *= numRows(4) * bpe
s_add_u32  s[sgprSrdC+0], s[sgprSrdC+0], s60       // incToNextRow: gra SRD += inc(lower)
s_addc_u32  s[sgprSrdC+1], s[sgprSrdC+1], 0        // incToNextRow: gra SRD += inc(upper)
_buffer_load_b128 v[16:19], v7, s[sgprSrdC:sgprSrdC+3], 0, offen offset:0,  nt // load C for beta calc
s_sleep 3 // optimization: sync and wait
s_barrier
v_accvgpr_read_b32 v[vgprValuC+12], acc40 // copy acc to vreg[56]
v_accvgpr_read_b32 v[vgprValuC+13], acc41 // copy acc to vreg[57]
v_accvgpr_read_b32 v[vgprValuC+14], acc136 // copy acc to vreg[58]
v_accvgpr_read_b32 v[vgprValuC+15], acc137 // copy acc to vreg[59]
v_accvgpr_read_b32 v[vgprValuC+20], acc26 // copy acc to vreg[60]
v_accvgpr_read_b32 v[vgprValuC+21], acc27 // copy acc to vreg[61]
v_accvgpr_read_b32 v[vgprValuC+22], acc122 // copy acc to vreg[62]
v_accvgpr_read_b32 v[vgprValuC+23], acc123 // copy acc to vreg[63]
s_nop 1                                            // 2 wait states required before reading vgpr

/* rC *= alpha batchElements=[(4, 2, 0, 0), (5, 0, 0, 0)] */
v_mul_f64 v[24:25], s[sgprAlpha+0:sgprAlpha+0+1], v[vgprValuC+12:vgprValuC+12+1] // 
v_mul_f64 v[26:27], s[sgprAlpha+2:sgprAlpha+2+1], v[vgprValuC+12:vgprValuC+12+1] // 
v_fma_f64 v[vgprValuC+12:vgprValuC+12+1], s[sgprAlpha+2:sgprAlpha+2+1], -v[vgprValuC+14:vgprValuC+14+1], v[24:25]
v_fma_f64 v[vgprValuC+14:vgprValuC+14+1], s[sgprAlpha+0:sgprAlpha+0+1], v[vgprValuC+14:vgprValuC+14+1], v[26:27]
v_mul_f64 v[24:25], s[sgprAlpha+0:sgprAlpha+0+1], v[vgprValuC+20:vgprValuC+20+1] // 
v_mul_f64 v[26:27], s[sgprAlpha+2:sgprAlpha+2+1], v[vgprValuC+20:vgprValuC+20+1] // 
v_fma_f64 v[vgprValuC+20:vgprValuC+20+1], s[sgprAlpha+2:sgprAlpha+2+1], -v[vgprValuC+22:vgprValuC+22+1], v[24:25]
v_fma_f64 v[vgprValuC+22:vgprValuC+22+1], s[sgprAlpha+0:sgprAlpha+0+1], v[vgprValuC+22:vgprValuC+22+1], v[26:27]

/* apply mask, calc new C and issue writes */

s_waitcnt vmcnt(1)                                 // wait C (interleaved) 1 = 2 - 0 + 0 - 1
v_fma_f64 v[vgprValuC+12:vgprValuC+12+1], v[8:9], s[sgprBeta+0:sgprBeta+0+1], v[vgprValuC+12:vgprValuC+12+1]
v_fma_f64 v[vgprValuC+12:vgprValuC+12+1], v[10:11], -s[sgprBeta+2:sgprBeta+2+1], v[vgprValuC+12:vgprValuC+12+1]
v_fma_f64 v[vgprValuC+14:vgprValuC+14+1], v[8:9], s[sgprBeta+2:sgprBeta+2+1], v[vgprValuC+14:vgprValuC+14+1]
v_fma_f64 v[vgprValuC+14:vgprValuC+14+1], v[10:11], s[sgprBeta+0:sgprBeta+0+1], v[vgprValuC+14:vgprValuC+14+1]
_buffer_store_b128 v[12:15], v6, s[sgprSrdD:sgprSrdD+3], 0, offen, offset:1024,  nt // store D

s_waitcnt vmcnt(1)                                 // wait C (interleaved) 1 = 2 - 1 + 1 - 1
v_fma_f64 v[vgprValuC+20:vgprValuC+20+1], v[16:17], s[sgprBeta+0:sgprBeta+0+1], v[vgprValuC+20:vgprValuC+20+1]
v_fma_f64 v[vgprValuC+20:vgprValuC+20+1], v[18:19], -s[sgprBeta+2:sgprBeta+2+1], v[vgprValuC+20:vgprValuC+20+1]
v_fma_f64 v[vgprValuC+22:vgprValuC+22+1], v[16:17], s[sgprBeta+2:sgprBeta+2+1], v[vgprValuC+22:vgprValuC+22+1]
v_fma_f64 v[vgprValuC+22:vgprValuC+22+1], v[18:19], s[sgprBeta+0:sgprBeta+0+1], v[vgprValuC+22:vgprValuC+22+1]
s_mul_i32 s60, s[sgprStrideD1J], 64                // scale StrideD *= numRows(4) * bpe
s_add_u32  s[sgprSrdD+0], s[sgprSrdD+0], s60       // incToNextRow: gra SRD += inc(lower)
s_addc_u32  s[sgprSrdD+1], s[sgprSrdD+1], 0        // incToNextRow: gra SRD += inc(upper)
_buffer_store_b128 v[20:23], v6, s[sgprSrdD:sgprSrdD+3], 0, offen, offset:0,  nt // store D
s_nop 0                                            // 1 wait state required when next inst writes vgprs held by previous dwordx4 store inst
/* optSingleColVgpr=1 optSharedColVgpr=0 optSGPRUsage=BufferLoad_Mask optSrdIncForRow=1 */
s_sleep 3 // optimization: sync and wait
s_barrier

/******************************************/
/* Global Write Alpha Beta Batch #8 (d1,d0,vc1,vc0) = */
/*    (5,1,0,0:vw1); (5,2,0,0:vw1)        */
/******************************************/

/* calc coords, apply mask, and issue loads (if necessary) */
/* (d1,vc1,d0,vc0)=(5,0,1,0) */
_buffer_load_b128 v[8:11], v7, s[sgprSrdC:sgprSrdC+3], 0, offen offset:512,  nt // load C for beta calc
/* (d1,vc1,d0,vc0)=(5,0,2,0) */
_buffer_load_b128 v[16:19], v7, s[sgprSrdC:sgprSrdC+3], 0, offen offset:1024,  nt // load C for beta calc
s_sleep 3 // optimization: sync and wait
s_barrier
v_accvgpr_read_b32 v[vgprValuC+12], acc34 // copy acc to vreg[64]
v_accvgpr_read_b32 v[vgprValuC+13], acc35 // copy acc to vreg[65]
v_accvgpr_read_b32 v[vgprValuC+14], acc130 // copy acc to vreg[66]
v_accvgpr_read_b32 v[vgprValuC+15], acc131 // copy acc to vreg[67]
v_accvgpr_read_b32 v[vgprValuC+20], acc42 // copy acc to vreg[68]
v_accvgpr_read_b32 v[vgprValuC+21], acc43 // copy acc to vreg[69]
v_accvgpr_read_b32 v[vgprValuC+22], acc138 // copy acc to vreg[70]
v_accvgpr_read_b32 v[vgprValuC+23], acc139 // copy acc to vreg[71]
s_nop 1                                            // 2 wait states required before reading vgpr

/* rC *= alpha batchElements=[(5, 1, 0, 0), (5, 2, 0, 0)] */
v_mul_f64 v[24:25], s[sgprAlpha+0:sgprAlpha+0+1], v[vgprValuC+12:vgprValuC+12+1] // 
v_mul_f64 v[26:27], s[sgprAlpha+2:sgprAlpha+2+1], v[vgprValuC+12:vgprValuC+12+1] // 
v_fma_f64 v[vgprValuC+12:vgprValuC+12+1], s[sgprAlpha+2:sgprAlpha+2+1], -v[vgprValuC+14:vgprValuC+14+1], v[24:25]
v_fma_f64 v[vgprValuC+14:vgprValuC+14+1], s[sgprAlpha+0:sgprAlpha+0+1], v[vgprValuC+14:vgprValuC+14+1], v[26:27]
v_mul_f64 v[24:25], s[sgprAlpha+0:sgprAlpha+0+1], v[vgprValuC+20:vgprValuC+20+1] // 
v_mul_f64 v[26:27], s[sgprAlpha+2:sgprAlpha+2+1], v[vgprValuC+20:vgprValuC+20+1] // 
v_fma_f64 v[vgprValuC+20:vgprValuC+20+1], s[sgprAlpha+2:sgprAlpha+2+1], -v[vgprValuC+22:vgprValuC+22+1], v[24:25]
v_fma_f64 v[vgprValuC+22:vgprValuC+22+1], s[sgprAlpha+0:sgprAlpha+0+1], v[vgprValuC+22:vgprValuC+22+1], v[26:27]

/* apply mask, calc new C and issue writes */

s_waitcnt vmcnt(1)                                 // wait C (interleaved) 1 = 2 - 0 + 0 - 1
v_fma_f64 v[vgprValuC+12:vgprValuC+12+1], v[8:9], s[sgprBeta+0:sgprBeta+0+1], v[vgprValuC+12:vgprValuC+12+1]
v_fma_f64 v[vgprValuC+12:vgprValuC+12+1], v[10:11], -s[sgprBeta+2:sgprBeta+2+1], v[vgprValuC+12:vgprValuC+12+1]
v_fma_f64 v[vgprValuC+14:vgprValuC+14+1], v[8:9], s[sgprBeta+2:sgprBeta+2+1], v[vgprValuC+14:vgprValuC+14+1]
v_fma_f64 v[vgprValuC+14:vgprValuC+14+1], v[10:11], s[sgprBeta+0:sgprBeta+0+1], v[vgprValuC+14:vgprValuC+14+1]
_buffer_store_b128 v[12:15], v6, s[sgprSrdD:sgprSrdD+3], 0, offen, offset:512,  nt // store D

s_waitcnt vmcnt(1)                                 // wait C (interleaved) 1 = 2 - 1 + 1 - 1
v_fma_f64 v[vgprValuC+20:vgprValuC+20+1], v[16:17], s[sgprBeta+0:sgprBeta+0+1], v[vgprValuC+20:vgprValuC+20+1]
v_fma_f64 v[vgprValuC+20:vgprValuC+20+1], v[18:19], -s[sgprBeta+2:sgprBeta+2+1], v[vgprValuC+20:vgprValuC+20+1]
v_fma_f64 v[vgprValuC+22:vgprValuC+22+1], v[16:17], s[sgprBeta+2:sgprBeta+2+1], v[vgprValuC+22:vgprValuC+22+1]
v_fma_f64 v[vgprValuC+22:vgprValuC+22+1], v[18:19], s[sgprBeta+0:sgprBeta+0+1], v[vgprValuC+22:vgprValuC+22+1]
_buffer_store_b128 v[20:23], v6, s[sgprSrdD:sgprSrdD+3], 0, offen, offset:1024,  nt // store D
s_nop 0                                            // 1 wait state required when next inst writes vgprs held by previous dwordx4 store inst
/* optSingleColVgpr=1 optSharedColVgpr=0 optSGPRUsage=BufferLoad_Mask optSrdIncForRow=1 */
s_sleep 3 // optimization: sync and wait
s_barrier

/******************************************/
/* Global Write Alpha Beta Batch #9 (d1,d0,vc1,vc0) = */
/*    (6,0,0,0:vw1); (6,1,0,0:vw1)        */
/******************************************/

/* calc coords, apply mask, and issue loads (if necessary) */
/* (d1,vc1,d0,vc0)=(6,0,0,0) */
s_mul_i32 s60, s[sgprStrideC1J], 64                // scale StrideC *= numRows(4) * bpe
s_add_u32  s[sgprSrdC+0], s[sgprSrdC+0], s60       // incToNextRow: gra SRD += inc(lower)
s_addc_u32  s[sgprSrdC+1], s[sgprSrdC+1], 0        // incToNextRow: gra SRD += inc(upper)
_buffer_load_b128 v[8:11], v7, s[sgprSrdC:sgprSrdC+3], 0, offen offset:0,  nt // load C for beta calc
/* (d1,vc1,d0,vc0)=(6,0,1,0) */
_buffer_load_b128 v[16:19], v7, s[sgprSrdC:sgprSrdC+3], 0, offen offset:512,  nt // load C for beta calc
s_sleep 3 // optimization: sync and wait
s_barrier
v_accvgpr_read_b32 v[vgprValuC+12], acc28 // copy acc to vreg[72]
v_accvgpr_read_b32 v[vgprValuC+13], acc29 // copy acc to vreg[73]
v_accvgpr_read_b32 v[vgprValuC+14], acc124 // copy acc to vreg[74]
v_accvgpr_read_b32 v[vgprValuC+15], acc125 // copy acc to vreg[75]
v_accvgpr_read_b32 v[vgprValuC+20], acc36 // copy acc to vreg[76]
v_accvgpr_read_b32 v[vgprValuC+21], acc37 // copy acc to vreg[77]
v_accvgpr_read_b32 v[vgprValuC+22], acc132 // copy acc to vreg[78]
v_accvgpr_read_b32 v[vgprValuC+23], acc133 // copy acc to vreg[79]
s_nop 1                                            // 2 wait states required before reading vgpr

/* rC *= alpha batchElements=[(6, 0, 0, 0), (6, 1, 0, 0)] */
v_mul_f64 v[24:25], s[sgprAlpha+0:sgprAlpha+0+1], v[vgprValuC+12:vgprValuC+12+1] // 
v_mul_f64 v[26:27], s[sgprAlpha+2:sgprAlpha+2+1], v[vgprValuC+12:vgprValuC+12+1] // 
v_fma_f64 v[vgprValuC+12:vgprValuC+12+1], s[sgprAlpha+2:sgprAlpha+2+1], -v[vgprValuC+14:vgprValuC+14+1], v[24:25]
v_fma_f64 v[vgprValuC+14:vgprValuC+14+1], s[sgprAlpha+0:sgprAlpha+0+1], v[vgprValuC+14:vgprValuC+14+1], v[26:27]
v_mul_f64 v[24:25], s[sgprAlpha+0:sgprAlpha+0+1], v[vgprValuC+20:vgprValuC+20+1] // 
v_mul_f64 v[26:27], s[sgprAlpha+2:sgprAlpha+2+1], v[vgprValuC+20:vgprValuC+20+1] // 
v_fma_f64 v[vgprValuC+20:vgprValuC+20+1], s[sgprAlpha+2:sgprAlpha+2+1], -v[vgprValuC+22:vgprValuC+22+1], v[24:25]
v_fma_f64 v[vgprValuC+22:vgprValuC+22+1], s[sgprAlpha+0:sgprAlpha+0+1], v[vgprValuC+22:vgprValuC+22+1], v[26:27]

/* apply mask, calc new C and issue writes */

s_waitcnt vmcnt(1)                                 // wait C (interleaved) 1 = 2 - 0 + 0 - 1
v_fma_f64 v[vgprValuC+12:vgprValuC+12+1], v[8:9], s[sgprBeta+0:sgprBeta+0+1], v[vgprValuC+12:vgprValuC+12+1]
v_fma_f64 v[vgprValuC+12:vgprValuC+12+1], v[10:11], -s[sgprBeta+2:sgprBeta+2+1], v[vgprValuC+12:vgprValuC+12+1]
v_fma_f64 v[vgprValuC+14:vgprValuC+14+1], v[8:9], s[sgprBeta+2:sgprBeta+2+1], v[vgprValuC+14:vgprValuC+14+1]
v_fma_f64 v[vgprValuC+14:vgprValuC+14+1], v[10:11], s[sgprBeta+0:sgprBeta+0+1], v[vgprValuC+14:vgprValuC+14+1]
s_mul_i32 s60, s[sgprStrideD1J], 64                // scale StrideD *= numRows(4) * bpe
s_add_u32  s[sgprSrdD+0], s[sgprSrdD+0], s60       // incToNextRow: gra SRD += inc(lower)
s_addc_u32  s[sgprSrdD+1], s[sgprSrdD+1], 0        // incToNextRow: gra SRD += inc(upper)
_buffer_store_b128 v[12:15], v6, s[sgprSrdD:sgprSrdD+3], 0, offen, offset:0,  nt // store D

s_waitcnt vmcnt(1)                                 // wait C (interleaved) 1 = 2 - 1 + 1 - 1
v_fma_f64 v[vgprValuC+20:vgprValuC+20+1], v[16:17], s[sgprBeta+0:sgprBeta+0+1], v[vgprValuC+20:vgprValuC+20+1]
v_fma_f64 v[vgprValuC+20:vgprValuC+20+1], v[18:19], -s[sgprBeta+2:sgprBeta+2+1], v[vgprValuC+20:vgprValuC+20+1]
v_fma_f64 v[vgprValuC+22:vgprValuC+22+1], v[16:17], s[sgprBeta+2:sgprBeta+2+1], v[vgprValuC+22:vgprValuC+22+1]
v_fma_f64 v[vgprValuC+22:vgprValuC+22+1], v[18:19], s[sgprBeta+0:sgprBeta+0+1], v[vgprValuC+22:vgprValuC+22+1]
_buffer_store_b128 v[20:23], v6, s[sgprSrdD:sgprSrdD+3], 0, offen, offset:512,  nt // store D
s_nop 0                                            // 1 wait state required when next inst writes vgprs held by previous dwordx4 store inst
/* optSingleColVgpr=1 optSharedColVgpr=0 optSGPRUsage=BufferLoad_Mask optSrdIncForRow=1 */
s_sleep 3 // optimization: sync and wait
s_barrier

/******************************************/
/* Global Write Alpha Beta Batch #10 (d1,d0,vc1,vc0) = */
/*    (6,2,0,0:vw1); (7,0,0,0:vw1)        */
/******************************************/

/* calc coords, apply mask, and issue loads (if necessary) */
/* (d1,vc1,d0,vc0)=(6,0,2,0) */
_buffer_load_b128 v[8:11], v7, s[sgprSrdC:sgprSrdC+3], 0, offen offset:1024,  nt // load C for beta calc
/* (d1,vc1,d0,vc0)=(7,0,0,0) */
s_mul_i32 s60, s[sgprStrideC1J], 64                // scale StrideC *= numRows(4) * bpe
s_add_u32  s[sgprSrdC+0], s[sgprSrdC+0], s60       // incToNextRow: gra SRD += inc(lower)
s_addc_u32  s[sgprSrdC+1], s[sgprSrdC+1], 0        // incToNextRow: gra SRD += inc(upper)
_buffer_load_b128 v[16:19], v7, s[sgprSrdC:sgprSrdC+3], 0, offen offset:0,  nt // load C for beta calc
s_sleep 3 // optimization: sync and wait
s_barrier
v_accvgpr_read_b32 v[vgprValuC+12], acc44 // copy acc to vreg[80]
v_accvgpr_read_b32 v[vgprValuC+13], acc45 // copy acc to vreg[81]
v_accvgpr_read_b32 v[vgprValuC+14], acc140 // copy acc to vreg[82]
v_accvgpr_read_b32 v[vgprValuC+15], acc141 // copy acc to vreg[83]
v_accvgpr_read_b32 v[vgprValuC+20], acc30 // copy acc to vreg[84]
v_accvgpr_read_b32 v[vgprValuC+21], acc31 // copy acc to vreg[85]
v_accvgpr_read_b32 v[vgprValuC+22], acc126 // copy acc to vreg[86]
v_accvgpr_read_b32 v[vgprValuC+23], acc127 // copy acc to vreg[87]
s_nop 1                                            // 2 wait states required before reading vgpr

/* rC *= alpha batchElements=[(6, 2, 0, 0), (7, 0, 0, 0)] */
v_mul_f64 v[24:25], s[sgprAlpha+0:sgprAlpha+0+1], v[vgprValuC+12:vgprValuC+12+1] // 
v_mul_f64 v[26:27], s[sgprAlpha+2:sgprAlpha+2+1], v[vgprValuC+12:vgprValuC+12+1] // 
v_fma_f64 v[vgprValuC+12:vgprValuC+12+1], s[sgprAlpha+2:sgprAlpha+2+1], -v[vgprValuC+14:vgprValuC+14+1], v[24:25]
v_fma_f64 v[vgprValuC+14:vgprValuC+14+1], s[sgprAlpha+0:sgprAlpha+0+1], v[vgprValuC+14:vgprValuC+14+1], v[26:27]
v_mul_f64 v[24:25], s[sgprAlpha+0:sgprAlpha+0+1], v[vgprValuC+20:vgprValuC+20+1] // 
v_mul_f64 v[26:27], s[sgprAlpha+2:sgprAlpha+2+1], v[vgprValuC+20:vgprValuC+20+1] // 
v_fma_f64 v[vgprValuC+20:vgprValuC+20+1], s[sgprAlpha+2:sgprAlpha+2+1], -v[vgprValuC+22:vgprValuC+22+1], v[24:25]
v_fma_f64 v[vgprValuC+22:vgprValuC+22+1], s[sgprAlpha+0:sgprAlpha+0+1], v[vgprValuC+22:vgprValuC+22+1], v[26:27]

/* apply mask, calc new C and issue writes */

s_waitcnt vmcnt(1)                                 // wait C (interleaved) 1 = 2 - 0 + 0 - 1
v_fma_f64 v[vgprValuC+12:vgprValuC+12+1], v[8:9], s[sgprBeta+0:sgprBeta+0+1], v[vgprValuC+12:vgprValuC+12+1]
v_fma_f64 v[vgprValuC+12:vgprValuC+12+1], v[10:11], -s[sgprBeta+2:sgprBeta+2+1], v[vgprValuC+12:vgprValuC+12+1]
v_fma_f64 v[vgprValuC+14:vgprValuC+14+1], v[8:9], s[sgprBeta+2:sgprBeta+2+1], v[vgprValuC+14:vgprValuC+14+1]
v_fma_f64 v[vgprValuC+14:vgprValuC+14+1], v[10:11], s[sgprBeta+0:sgprBeta+0+1], v[vgprValuC+14:vgprValuC+14+1]
_buffer_store_b128 v[12:15], v6, s[sgprSrdD:sgprSrdD+3], 0, offen, offset:1024,  nt // store D

s_waitcnt vmcnt(1)                                 // wait C (interleaved) 1 = 2 - 1 + 1 - 1
v_fma_f64 v[vgprValuC+20:vgprValuC+20+1], v[16:17], s[sgprBeta+0:sgprBeta+0+1], v[vgprValuC+20:vgprValuC+20+1]
v_fma_f64 v[vgprValuC+20:vgprValuC+20+1], v[18:19], -s[sgprBeta+2:sgprBeta+2+1], v[vgprValuC+20:vgprValuC+20+1]
v_fma_f64 v[vgprValuC+22:vgprValuC+22+1], v[16:17], s[sgprBeta+2:sgprBeta+2+1], v[vgprValuC+22:vgprValuC+22+1]
v_fma_f64 v[vgprValuC+22:vgprValuC+22+1], v[18:19], s[sgprBeta+0:sgprBeta+0+1], v[vgprValuC+22:vgprValuC+22+1]
s_mul_i32 s60, s[sgprStrideD1J], 64                // scale StrideD *= numRows(4) * bpe
s_add_u32  s[sgprSrdD+0], s[sgprSrdD+0], s60       // incToNextRow: gra SRD += inc(lower)
s_addc_u32  s[sgprSrdD+1], s[sgprSrdD+1], 0        // incToNextRow: gra SRD += inc(upper)
_buffer_store_b128 v[20:23], v6, s[sgprSrdD:sgprSrdD+3], 0, offen, offset:0,  nt // store D
s_nop 0                                            // 1 wait state required when next inst writes vgprs held by previous dwordx4 store inst
/* optSingleColVgpr=1 optSharedColVgpr=0 optSGPRUsage=BufferLoad_Mask optSrdIncForRow=1 */
s_sleep 3 // optimization: sync and wait
s_barrier

/******************************************/
/* Global Write Alpha Beta Batch #11 (d1,d0,vc1,vc0) = */
/*    (7,1,0,0:vw1); (7,2,0,0:vw1)        */
/******************************************/

/* calc coords, apply mask, and issue loads (if necessary) */
/* (d1,vc1,d0,vc0)=(7,0,1,0) */
_buffer_load_b128 v[8:11], v7, s[sgprSrdC:sgprSrdC+3], 0, offen offset:512,  nt // load C for beta calc
/* (d1,vc1,d0,vc0)=(7,0,2,0) */
_buffer_load_b128 v[16:19], v7, s[sgprSrdC:sgprSrdC+3], 0, offen offset:1024,  nt // load C for beta calc
s_sleep 3 // optimization: sync and wait
s_barrier
v_accvgpr_read_b32 v[vgprValuC+12], acc38 // copy acc to vreg[88]
v_accvgpr_read_b32 v[vgprValuC+13], acc39 // copy acc to vreg[89]
v_accvgpr_read_b32 v[vgprValuC+14], acc134 // copy acc to vreg[90]
v_accvgpr_read_b32 v[vgprValuC+15], acc135 // copy acc to vreg[91]
v_accvgpr_read_b32 v[vgprValuC+20], acc46 // copy acc to vreg[92]
v_accvgpr_read_b32 v[vgprValuC+21], acc47 // copy acc to vreg[93]
v_accvgpr_read_b32 v[vgprValuC+22], acc142 // copy acc to vreg[94]
v_accvgpr_read_b32 v[vgprValuC+23], acc143 // copy acc to vreg[95]
s_nop 1                                            // 2 wait states required before reading vgpr

/* rC *= alpha batchElements=[(7, 1, 0, 0), (7, 2, 0, 0)] */
v_mul_f64 v[24:25], s[sgprAlpha+0:sgprAlpha+0+1], v[vgprValuC+12:vgprValuC+12+1] // 
v_mul_f64 v[26:27], s[sgprAlpha+2:sgprAlpha+2+1], v[vgprValuC+12:vgprValuC+12+1] // 
v_fma_f64 v[vgprValuC+12:vgprValuC+12+1], s[sgprAlpha+2:sgprAlpha+2+1], -v[vgprValuC+14:vgprValuC+14+1], v[24:25]
v_fma_f64 v[vgprValuC+14:vgprValuC+14+1], s[sgprAlpha+0:sgprAlpha+0+1], v[vgprValuC+14:vgprValuC+14+1], v[26:27]
v_mul_f64 v[24:25], s[sgprAlpha+0:sgprAlpha+0+1], v[vgprValuC+20:vgprValuC+20+1] // 
v_mul_f64 v[26:27], s[sgprAlpha+2:sgprAlpha+2+1], v[vgprValuC+20:vgprValuC+20+1] // 
v_fma_f64 v[vgprValuC+20:vgprValuC+20+1], s[sgprAlpha+2:sgprAlpha+2+1], -v[vgprValuC+22:vgprValuC+22+1], v[24:25]
v_fma_f64 v[vgprValuC+22:vgprValuC+22+1], s[sgprAlpha+0:sgprAlpha+0+1], v[vgprValuC+22:vgprValuC+22+1], v[26:27]

/* apply mask, calc new C and issue writes */

s_waitcnt vmcnt(1)                                 // wait C (interleaved) 1 = 2 - 0 + 0 - 1
v_fma_f64 v[vgprValuC+12:vgprValuC+12+1], v[8:9], s[sgprBeta+0:sgprBeta+0+1], v[vgprValuC+12:vgprValuC+12+1]
v_fma_f64 v[vgprValuC+12:vgprValuC+12+1], v[10:11], -s[sgprBeta+2:sgprBeta+2+1], v[vgprValuC+12:vgprValuC+12+1]
v_fma_f64 v[vgprValuC+14:vgprValuC+14+1], v[8:9], s[sgprBeta+2:sgprBeta+2+1], v[vgprValuC+14:vgprValuC+14+1]
v_fma_f64 v[vgprValuC+14:vgprValuC+14+1], v[10:11], s[sgprBeta+0:sgprBeta+0+1], v[vgprValuC+14:vgprValuC+14+1]
_buffer_store_b128 v[12:15], v6, s[sgprSrdD:sgprSrdD+3], 0, offen, offset:512,  nt // store D

s_waitcnt vmcnt(1)                                 // wait C (interleaved) 1 = 2 - 1 + 1 - 1
v_fma_f64 v[vgprValuC+20:vgprValuC+20+1], v[16:17], s[sgprBeta+0:sgprBeta+0+1], v[vgprValuC+20:vgprValuC+20+1]
v_fma_f64 v[vgprValuC+20:vgprValuC+20+1], v[18:19], -s[sgprBeta+2:sgprBeta+2+1], v[vgprValuC+20:vgprValuC+20+1]
v_fma_f64 v[vgprValuC+22:vgprValuC+22+1], v[16:17], s[sgprBeta+2:sgprBeta+2+1], v[vgprValuC+22:vgprValuC+22+1]
v_fma_f64 v[vgprValuC+22:vgprValuC+22+1], v[18:19], s[sgprBeta+0:sgprBeta+0+1], v[vgprValuC+22:vgprValuC+22+1]
_buffer_store_b128 v[20:23], v6, s[sgprSrdD:sgprSrdD+3], 0, offen, offset:1024,  nt // store D
s_nop 0                                            // 1 wait state required when next inst writes vgprs held by previous dwordx4 store inst
/* optSingleColVgpr=1 optSharedColVgpr=0 optSGPRUsage=BufferLoad_Mask optSrdIncForRow=1 */
s_sleep 3 // optimization: sync and wait
s_barrier

/******************************************/
/* Global Write Alpha Beta Batch #12 (d1,d0,vc1,vc0) = */
/*    (8,0,0,0:vw1); (8,1,0,0:vw1)        */
/******************************************/

/* calc coords, apply mask, and issue loads (if necessary) */
/* (d1,vc1,d0,vc0)=(8,0,0,0) */
s_mul_i32 s60, s[sgprStrideC1J], 320               // scale StrideC *= numRows(20) * bpe
s_add_u32  s[sgprSrdC+0], s[sgprSrdC+0], s60       // incToNextRow: gra SRD += inc(lower)
s_addc_u32  s[sgprSrdC+1], s[sgprSrdC+1], 0        // incToNextRow: gra SRD += inc(upper)
_buffer_load_b128 v[8:11], v7, s[sgprSrdC:sgprSrdC+3], 0, offen offset:0,  nt // load C for beta calc
/* (d1,vc1,d0,vc0)=(8,0,1,0) */
_buffer_load_b128 v[16:19], v7, s[sgprSrdC:sgprSrdC+3], 0, offen offset:512,  nt // load C for beta calc
s_sleep 3 // optimization: sync and wait
s_barrier
v_accvgpr_read_b32 v[vgprValuC+12], acc48 // copy acc to vreg[96]
v_accvgpr_read_b32 v[vgprValuC+13], acc49 // copy acc to vreg[97]
v_accvgpr_read_b32 v[vgprValuC+14], acc144 // copy acc to vreg[98]
v_accvgpr_read_b32 v[vgprValuC+15], acc145 // copy acc to vreg[99]
v_accvgpr_read_b32 v[vgprValuC+20], acc56 // copy acc to vreg[100]
v_accvgpr_read_b32 v[vgprValuC+21], acc57 // copy acc to vreg[101]
v_accvgpr_read_b32 v[vgprValuC+22], acc152 // copy acc to vreg[102]
v_accvgpr_read_b32 v[vgprValuC+23], acc153 // copy acc to vreg[103]
s_nop 1                                            // 2 wait states required before reading vgpr

/* rC *= alpha batchElements=[(8, 0, 0, 0), (8, 1, 0, 0)] */
v_mul_f64 v[24:25], s[sgprAlpha+0:sgprAlpha+0+1], v[vgprValuC+12:vgprValuC+12+1] // 
v_mul_f64 v[26:27], s[sgprAlpha+2:sgprAlpha+2+1], v[vgprValuC+12:vgprValuC+12+1] // 
v_fma_f64 v[vgprValuC+12:vgprValuC+12+1], s[sgprAlpha+2:sgprAlpha+2+1], -v[vgprValuC+14:vgprValuC+14+1], v[24:25]
v_fma_f64 v[vgprValuC+14:vgprValuC+14+1], s[sgprAlpha+0:sgprAlpha+0+1], v[vgprValuC+14:vgprValuC+14+1], v[26:27]
v_mul_f64 v[24:25], s[sgprAlpha+0:sgprAlpha+0+1], v[vgprValuC+20:vgprValuC+20+1] // 
v_mul_f64 v[26:27], s[sgprAlpha+2:sgprAlpha+2+1], v[vgprValuC+20:vgprValuC+20+1] // 
v_fma_f64 v[vgprValuC+20:vgprValuC+20+1], s[sgprAlpha+2:sgprAlpha+2+1], -v[vgprValuC+22:vgprValuC+22+1], v[24:25]
v_fma_f64 v[vgprValuC+22:vgprValuC+22+1], s[sgprAlpha+0:sgprAlpha+0+1], v[vgprValuC+22:vgprValuC+22+1], v[26:27]

/* apply mask, calc new C and issue writes */

s_waitcnt vmcnt(1)                                 // wait C (interleaved) 1 = 2 - 0 + 0 - 1
v_fma_f64 v[vgprValuC+12:vgprValuC+12+1], v[8:9], s[sgprBeta+0:sgprBeta+0+1], v[vgprValuC+12:vgprValuC+12+1]
v_fma_f64 v[vgprValuC+12:vgprValuC+12+1], v[10:11], -s[sgprBeta+2:sgprBeta+2+1], v[vgprValuC+12:vgprValuC+12+1]
v_fma_f64 v[vgprValuC+14:vgprValuC+14+1], v[8:9], s[sgprBeta+2:sgprBeta+2+1], v[vgprValuC+14:vgprValuC+14+1]
v_fma_f64 v[vgprValuC+14:vgprValuC+14+1], v[10:11], s[sgprBeta+0:sgprBeta+0+1], v[vgprValuC+14:vgprValuC+14+1]
s_mul_i32 s60, s[sgprStrideD1J], 320               // scale StrideD *= numRows(20) * bpe
s_add_u32  s[sgprSrdD+0], s[sgprSrdD+0], s60       // incToNextRow: gra SRD += inc(lower)
s_addc_u32  s[sgprSrdD+1], s[sgprSrdD+1], 0        // incToNextRow: gra SRD += inc(upper)
_buffer_store_b128 v[12:15], v6, s[sgprSrdD:sgprSrdD+3], 0, offen, offset:0,  nt // store D

s_waitcnt vmcnt(1)                                 // wait C (interleaved) 1 = 2 - 1 + 1 - 1
v_fma_f64 v[vgprValuC+20:vgprValuC+20+1], v[16:17], s[sgprBeta+0:sgprBeta+0+1], v[vgprValuC+20:vgprValuC+20+1]
v_fma_f64 v[vgprValuC+20:vgprValuC+20+1], v[18:19], -s[sgprBeta+2:sgprBeta+2+1], v[vgprValuC+20:vgprValuC+20+1]
v_fma_f64 v[vgprValuC+22:vgprValuC+22+1], v[16:17], s[sgprBeta+2:sgprBeta+2+1], v[vgprValuC+22:vgprValuC+22+1]
v_fma_f64 v[vgprValuC+22:vgprValuC+22+1], v[18:19], s[sgprBeta+0:sgprBeta+0+1], v[vgprValuC+22:vgprValuC+22+1]
_buffer_store_b128 v[20:23], v6, s[sgprSrdD:sgprSrdD+3], 0, offen, offset:512,  nt // store D
s_nop 0                                            // 1 wait state required when next inst writes vgprs held by previous dwordx4 store inst
/* optSingleColVgpr=1 optSharedColVgpr=0 optSGPRUsage=BufferLoad_Mask optSrdIncForRow=1 */
s_sleep 3 // optimization: sync and wait
s_barrier

/******************************************/
/* Global Write Alpha Beta Batch #13 (d1,d0,vc1,vc0) = */
/*    (8,2,0,0:vw1); (9,0,0,0:vw1)        */
/******************************************/

/* calc coords, apply mask, and issue loads (if necessary) */
/* (d1,vc1,d0,vc0)=(8,0,2,0) */
_buffer_load_b128 v[8:11], v7, s[sgprSrdC:sgprSrdC+3], 0, offen offset:1024,  nt // load C for beta calc
/* (d1,vc1,d0,vc0)=(9,0,0,0) */
s_mul_i32 s60, s[sgprStrideC1J], 64                // scale StrideC *= numRows(4) * bpe
s_add_u32  s[sgprSrdC+0], s[sgprSrdC+0], s60       // incToNextRow: gra SRD += inc(lower)
s_addc_u32  s[sgprSrdC+1], s[sgprSrdC+1], 0        // incToNextRow: gra SRD += inc(upper)
_buffer_load_b128 v[16:19], v7, s[sgprSrdC:sgprSrdC+3], 0, offen offset:0,  nt // load C for beta calc
s_sleep 3 // optimization: sync and wait
s_barrier
v_accvgpr_read_b32 v[vgprValuC+12], acc64 // copy acc to vreg[104]
v_accvgpr_read_b32 v[vgprValuC+13], acc65 // copy acc to vreg[105]
v_accvgpr_read_b32 v[vgprValuC+14], acc160 // copy acc to vreg[106]
v_accvgpr_read_b32 v[vgprValuC+15], acc161 // copy acc to vreg[107]
v_accvgpr_read_b32 v[vgprValuC+20], acc50 // copy acc to vreg[108]
v_accvgpr_read_b32 v[vgprValuC+21], acc51 // copy acc to vreg[109]
v_accvgpr_read_b32 v[vgprValuC+22], acc146 // copy acc to vreg[110]
v_accvgpr_read_b32 v[vgprValuC+23], acc147 // copy acc to vreg[111]
s_nop 1                                            // 2 wait states required before reading vgpr

/* rC *= alpha batchElements=[(8, 2, 0, 0), (9, 0, 0, 0)] */
v_mul_f64 v[24:25], s[sgprAlpha+0:sgprAlpha+0+1], v[vgprValuC+12:vgprValuC+12+1] // 
v_mul_f64 v[26:27], s[sgprAlpha+2:sgprAlpha+2+1], v[vgprValuC+12:vgprValuC+12+1] // 
v_fma_f64 v[vgprValuC+12:vgprValuC+12+1], s[sgprAlpha+2:sgprAlpha+2+1], -v[vgprValuC+14:vgprValuC+14+1], v[24:25]
v_fma_f64 v[vgprValuC+14:vgprValuC+14+1], s[sgprAlpha+0:sgprAlpha+0+1], v[vgprValuC+14:vgprValuC+14+1], v[26:27]
v_mul_f64 v[24:25], s[sgprAlpha+0:sgprAlpha+0+1], v[vgprValuC+20:vgprValuC+20+1] // 
v_mul_f64 v[26:27], s[sgprAlpha+2:sgprAlpha+2+1], v[vgprValuC+20:vgprValuC+20+1] // 
v_fma_f64 v[vgprValuC+20:vgprValuC+20+1], s[sgprAlpha+2:sgprAlpha+2+1], -v[vgprValuC+22:vgprValuC+22+1], v[24:25]
v_fma_f64 v[vgprValuC+22:vgprValuC+22+1], s[sgprAlpha+0:sgprAlpha+0+1], v[vgprValuC+22:vgprValuC+22+1], v[26:27]

/* apply mask, calc new C and issue writes */

s_waitcnt vmcnt(1)                                 // wait C (interleaved) 1 = 2 - 0 + 0 - 1
v_fma_f64 v[vgprValuC+12:vgprValuC+12+1], v[8:9], s[sgprBeta+0:sgprBeta+0+1], v[vgprValuC+12:vgprValuC+12+1]
v_fma_f64 v[vgprValuC+12:vgprValuC+12+1], v[10:11], -s[sgprBeta+2:sgprBeta+2+1], v[vgprValuC+12:vgprValuC+12+1]
v_fma_f64 v[vgprValuC+14:vgprValuC+14+1], v[8:9], s[sgprBeta+2:sgprBeta+2+1], v[vgprValuC+14:vgprValuC+14+1]
v_fma_f64 v[vgprValuC+14:vgprValuC+14+1], v[10:11], s[sgprBeta+0:sgprBeta+0+1], v[vgprValuC+14:vgprValuC+14+1]
_buffer_store_b128 v[12:15], v6, s[sgprSrdD:sgprSrdD+3], 0, offen, offset:1024,  nt // store D

s_waitcnt vmcnt(1)                                 // wait C (interleaved) 1 = 2 - 1 + 1 - 1
v_fma_f64 v[vgprValuC+20:vgprValuC+20+1], v[16:17], s[sgprBeta+0:sgprBeta+0+1], v[vgprValuC+20:vgprValuC+20+1]
v_fma_f64 v[vgprValuC+20:vgprValuC+20+1], v[18:19], -s[sgprBeta+2:sgprBeta+2+1], v[vgprValuC+20:vgprValuC+20+1]
v_fma_f64 v[vgprValuC+22:vgprValuC+22+1], v[16:17], s[sgprBeta+2:sgprBeta+2+1], v[vgprValuC+22:vgprValuC+22+1]
v_fma_f64 v[vgprValuC+22:vgprValuC+22+1], v[18:19], s[sgprBeta+0:sgprBeta+0+1], v[vgprValuC+22:vgprValuC+22+1]
s_mul_i32 s60, s[sgprStrideD1J], 64                // scale StrideD *= numRows(4) * bpe
s_add_u32  s[sgprSrdD+0], s[sgprSrdD+0], s60       // incToNextRow: gra SRD += inc(lower)
s_addc_u32  s[sgprSrdD+1], s[sgprSrdD+1], 0        // incToNextRow: gra SRD += inc(upper)
_buffer_store_b128 v[20:23], v6, s[sgprSrdD:sgprSrdD+3], 0, offen, offset:0,  nt // store D
s_nop 0                                            // 1 wait state required when next inst writes vgprs held by previous dwordx4 store inst
/* optSingleColVgpr=1 optSharedColVgpr=0 optSGPRUsage=BufferLoad_Mask optSrdIncForRow=1 */
s_sleep 3 // optimization: sync and wait
s_barrier

/******************************************/
/* Global Write Alpha Beta Batch #14 (d1,d0,vc1,vc0) = */
/*    (9,1,0,0:vw1); (9,2,0,0:vw1)        */
/******************************************/

/* calc coords, apply mask, and issue loads (if necessary) */
/* (d1,vc1,d0,vc0)=(9,0,1,0) */
_buffer_load_b128 v[8:11], v7, s[sgprSrdC:sgprSrdC+3], 0, offen offset:512,  nt // load C for beta calc
/* (d1,vc1,d0,vc0)=(9,0,2,0) */
_buffer_load_b128 v[16:19], v7, s[sgprSrdC:sgprSrdC+3], 0, offen offset:1024,  nt // load C for beta calc
s_sleep 3 // optimization: sync and wait
s_barrier
v_accvgpr_read_b32 v[vgprValuC+12], acc58 // copy acc to vreg[112]
v_accvgpr_read_b32 v[vgprValuC+13], acc59 // copy acc to vreg[113]
v_accvgpr_read_b32 v[vgprValuC+14], acc154 // copy acc to vreg[114]
v_accvgpr_read_b32 v[vgprValuC+15], acc155 // copy acc to vreg[115]
v_accvgpr_read_b32 v[vgprValuC+20], acc66 // copy acc to vreg[116]
v_accvgpr_read_b32 v[vgprValuC+21], acc67 // copy acc to vreg[117]
v_accvgpr_read_b32 v[vgprValuC+22], acc162 // copy acc to vreg[118]
v_accvgpr_read_b32 v[vgprValuC+23], acc163 // copy acc to vreg[119]
s_nop 1                                            // 2 wait states required before reading vgpr

/* rC *= alpha batchElements=[(9, 1, 0, 0), (9, 2, 0, 0)] */
v_mul_f64 v[24:25], s[sgprAlpha+0:sgprAlpha+0+1], v[vgprValuC+12:vgprValuC+12+1] // 
v_mul_f64 v[26:27], s[sgprAlpha+2:sgprAlpha+2+1], v[vgprValuC+12:vgprValuC+12+1] // 
v_fma_f64 v[vgprValuC+12:vgprValuC+12+1], s[sgprAlpha+2:sgprAlpha+2+1], -v[vgprValuC+14:vgprValuC+14+1], v[24:25]
v_fma_f64 v[vgprValuC+14:vgprValuC+14+1], s[sgprAlpha+0:sgprAlpha+0+1], v[vgprValuC+14:vgprValuC+14+1], v[26:27]
v_mul_f64 v[24:25], s[sgprAlpha+0:sgprAlpha+0+1], v[vgprValuC+20:vgprValuC+20+1] // 
v_mul_f64 v[26:27], s[sgprAlpha+2:sgprAlpha+2+1], v[vgprValuC+20:vgprValuC+20+1] // 
v_fma_f64 v[vgprValuC+20:vgprValuC+20+1], s[sgprAlpha+2:sgprAlpha+2+1], -v[vgprValuC+22:vgprValuC+22+1], v[24:25]
v_fma_f64 v[vgprValuC+22:vgprValuC+22+1], s[sgprAlpha+0:sgprAlpha+0+1], v[vgprValuC+22:vgprValuC+22+1], v[26:27]

/* apply mask, calc new C and issue writes */

s_waitcnt vmcnt(1)                                 // wait C (interleaved) 1 = 2 - 0 + 0 - 1
v_fma_f64 v[vgprValuC+12:vgprValuC+12+1], v[8:9], s[sgprBeta+0:sgprBeta+0+1], v[vgprValuC+12:vgprValuC+12+1]
v_fma_f64 v[vgprValuC+12:vgprValuC+12+1], v[10:11], -s[sgprBeta+2:sgprBeta+2+1], v[vgprValuC+12:vgprValuC+12+1]
v_fma_f64 v[vgprValuC+14:vgprValuC+14+1], v[8:9], s[sgprBeta+2:sgprBeta+2+1], v[vgprValuC+14:vgprValuC+14+1]
v_fma_f64 v[vgprValuC+14:vgprValuC+14+1], v[10:11], s[sgprBeta+0:sgprBeta+0+1], v[vgprValuC+14:vgprValuC+14+1]
_buffer_store_b128 v[12:15], v6, s[sgprSrdD:sgprSrdD+3], 0, offen, offset:512,  nt // store D

s_waitcnt vmcnt(1)                                 // wait C (interleaved) 1 = 2 - 1 + 1 - 1
v_fma_f64 v[vgprValuC+20:vgprValuC+20+1], v[16:17], s[sgprBeta+0:sgprBeta+0+1], v[vgprValuC+20:vgprValuC+20+1]
v_fma_f64 v[vgprValuC+20:vgprValuC+20+1], v[18:19], -s[sgprBeta+2:sgprBeta+2+1], v[vgprValuC+20:vgprValuC+20+1]
v_fma_f64 v[vgprValuC+22:vgprValuC+22+1], v[16:17], s[sgprBeta+2:sgprBeta+2+1], v[vgprValuC+22:vgprValuC+22+1]
v_fma_f64 v[vgprValuC+22:vgprValuC+22+1], v[18:19], s[sgprBeta+0:sgprBeta+0+1], v[vgprValuC+22:vgprValuC+22+1]
_buffer_store_b128 v[20:23], v6, s[sgprSrdD:sgprSrdD+3], 0, offen, offset:1024,  nt // store D
s_nop 0                                            // 1 wait state required when next inst writes vgprs held by previous dwordx4 store inst
/* optSingleColVgpr=1 optSharedColVgpr=0 optSGPRUsage=BufferLoad_Mask optSrdIncForRow=1 */
s_sleep 3 // optimization: sync and wait
s_barrier

/******************************************/
/* Global Write Alpha Beta Batch #15 (d1,d0,vc1,vc0) = */
/*    (10,0,0,0:vw1); (10,1,0,0:vw1)      */
/******************************************/

/* calc coords, apply mask, and issue loads (if necessary) */
/* (d1,vc1,d0,vc0)=(10,0,0,0) */
s_mul_i32 s60, s[sgprStrideC1J], 64                // scale StrideC *= numRows(4) * bpe
s_add_u32  s[sgprSrdC+0], s[sgprSrdC+0], s60       // incToNextRow: gra SRD += inc(lower)
s_addc_u32  s[sgprSrdC+1], s[sgprSrdC+1], 0        // incToNextRow: gra SRD += inc(upper)
_buffer_load_b128 v[8:11], v7, s[sgprSrdC:sgprSrdC+3], 0, offen offset:0,  nt // load C for beta calc
/* (d1,vc1,d0,vc0)=(10,0,1,0) */
_buffer_load_b128 v[16:19], v7, s[sgprSrdC:sgprSrdC+3], 0, offen offset:512,  nt // load C for beta calc
s_sleep 3 // optimization: sync and wait
s_barrier
v_accvgpr_read_b32 v[vgprValuC+12], acc52 // copy acc to vreg[120]
v_accvgpr_read_b32 v[vgprValuC+13], acc53 // copy acc to vreg[121]
v_accvgpr_read_b32 v[vgprValuC+14], acc148 // copy acc to vreg[122]
v_accvgpr_read_b32 v[vgprValuC+15], acc149 // copy acc to vreg[123]
v_accvgpr_read_b32 v[vgprValuC+20], acc60 // copy acc to vreg[124]
v_accvgpr_read_b32 v[vgprValuC+21], acc61 // copy acc to vreg[125]
v_accvgpr_read_b32 v[vgprValuC+22], acc156 // copy acc to vreg[126]
v_accvgpr_read_b32 v[vgprValuC+23], acc157 // copy acc to vreg[127]
s_nop 1                                            // 2 wait states required before reading vgpr

/* rC *= alpha batchElements=[(10, 0, 0, 0), (10, 1, 0, 0)] */
v_mul_f64 v[24:25], s[sgprAlpha+0:sgprAlpha+0+1], v[vgprValuC+12:vgprValuC+12+1] // 
v_mul_f64 v[26:27], s[sgprAlpha+2:sgprAlpha+2+1], v[vgprValuC+12:vgprValuC+12+1] // 
v_fma_f64 v[vgprValuC+12:vgprValuC+12+1], s[sgprAlpha+2:sgprAlpha+2+1], -v[vgprValuC+14:vgprValuC+14+1], v[24:25]
v_fma_f64 v[vgprValuC+14:vgprValuC+14+1], s[sgprAlpha+0:sgprAlpha+0+1], v[vgprValuC+14:vgprValuC+14+1], v[26:27]
v_mul_f64 v[24:25], s[sgprAlpha+0:sgprAlpha+0+1], v[vgprValuC+20:vgprValuC+20+1] // 
v_mul_f64 v[26:27], s[sgprAlpha+2:sgprAlpha+2+1], v[vgprValuC+20:vgprValuC+20+1] // 
v_fma_f64 v[vgprValuC+20:vgprValuC+20+1], s[sgprAlpha+2:sgprAlpha+2+1], -v[vgprValuC+22:vgprValuC+22+1], v[24:25]
v_fma_f64 v[vgprValuC+22:vgprValuC+22+1], s[sgprAlpha+0:sgprAlpha+0+1], v[vgprValuC+22:vgprValuC+22+1], v[26:27]

/* apply mask, calc new C and issue writes */

s_waitcnt vmcnt(1)                                 // wait C (interleaved) 1 = 2 - 0 + 0 - 1
v_fma_f64 v[vgprValuC+12:vgprValuC+12+1], v[8:9], s[sgprBeta+0:sgprBeta+0+1], v[vgprValuC+12:vgprValuC+12+1]
v_fma_f64 v[vgprValuC+12:vgprValuC+12+1], v[10:11], -s[sgprBeta+2:sgprBeta+2+1], v[vgprValuC+12:vgprValuC+12+1]
v_fma_f64 v[vgprValuC+14:vgprValuC+14+1], v[8:9], s[sgprBeta+2:sgprBeta+2+1], v[vgprValuC+14:vgprValuC+14+1]
v_fma_f64 v[vgprValuC+14:vgprValuC+14+1], v[10:11], s[sgprBeta+0:sgprBeta+0+1], v[vgprValuC+14:vgprValuC+14+1]
s_mul_i32 s60, s[sgprStrideD1J], 64                // scale StrideD *= numRows(4) * bpe
s_add_u32  s[sgprSrdD+0], s[sgprSrdD+0], s60       // incToNextRow: gra SRD += inc(lower)
s_addc_u32  s[sgprSrdD+1], s[sgprSrdD+1], 0        // incToNextRow: gra SRD += inc(upper)
_buffer_store_b128 v[12:15], v6, s[sgprSrdD:sgprSrdD+3], 0, offen, offset:0,  nt // store D

s_waitcnt vmcnt(1)                                 // wait C (interleaved) 1 = 2 - 1 + 1 - 1
v_fma_f64 v[vgprValuC+20:vgprValuC+20+1], v[16:17], s[sgprBeta+0:sgprBeta+0+1], v[vgprValuC+20:vgprValuC+20+1]
v_fma_f64 v[vgprValuC+20:vgprValuC+20+1], v[18:19], -s[sgprBeta+2:sgprBeta+2+1], v[vgprValuC+20:vgprValuC+20+1]
v_fma_f64 v[vgprValuC+22:vgprValuC+22+1], v[16:17], s[sgprBeta+2:sgprBeta+2+1], v[vgprValuC+22:vgprValuC+22+1]
v_fma_f64 v[vgprValuC+22:vgprValuC+22+1], v[18:19], s[sgprBeta+0:sgprBeta+0+1], v[vgprValuC+22:vgprValuC+22+1]
_buffer_store_b128 v[20:23], v6, s[sgprSrdD:sgprSrdD+3], 0, offen, offset:512,  nt // store D
s_nop 0                                            // 1 wait state required when next inst writes vgprs held by previous dwordx4 store inst
/* optSingleColVgpr=1 optSharedColVgpr=0 optSGPRUsage=BufferLoad_Mask optSrdIncForRow=1 */
s_sleep 3 // optimization: sync and wait
s_barrier

/******************************************/
/* Global Write Alpha Beta Batch #16 (d1,d0,vc1,vc0) = */
/*    (10,2,0,0:vw1); (11,0,0,0:vw1)      */
/******************************************/

/* calc coords, apply mask, and issue loads (if necessary) */
/* (d1,vc1,d0,vc0)=(10,0,2,0) */
_buffer_load_b128 v[8:11], v7, s[sgprSrdC:sgprSrdC+3], 0, offen offset:1024,  nt // load C for beta calc
/* (d1,vc1,d0,vc0)=(11,0,0,0) */
s_mul_i32 s60, s[sgprStrideC1J], 64                // scale StrideC *= numRows(4) * bpe
s_add_u32  s[sgprSrdC+0], s[sgprSrdC+0], s60       // incToNextRow: gra SRD += inc(lower)
s_addc_u32  s[sgprSrdC+1], s[sgprSrdC+1], 0        // incToNextRow: gra SRD += inc(upper)
_buffer_load_b128 v[16:19], v7, s[sgprSrdC:sgprSrdC+3], 0, offen offset:0,  nt // load C for beta calc
s_sleep 3 // optimization: sync and wait
s_barrier
v_accvgpr_read_b32 v[vgprValuC+12], acc68 // copy acc to vreg[128]
v_accvgpr_read_b32 v[vgprValuC+13], acc69 // copy acc to vreg[129]
v_accvgpr_read_b32 v[vgprValuC+14], acc164 // copy acc to vreg[130]
v_accvgpr_read_b32 v[vgprValuC+15], acc165 // copy acc to vreg[131]
v_accvgpr_read_b32 v[vgprValuC+20], acc54 // copy acc to vreg[132]
v_accvgpr_read_b32 v[vgprValuC+21], acc55 // copy acc to vreg[133]
v_accvgpr_read_b32 v[vgprValuC+22], acc150 // copy acc to vreg[134]
v_accvgpr_read_b32 v[vgprValuC+23], acc151 // copy acc to vreg[135]
s_nop 1                                            // 2 wait states required before reading vgpr

/* rC *= alpha batchElements=[(10, 2, 0, 0), (11, 0, 0, 0)] */
v_mul_f64 v[24:25], s[sgprAlpha+0:sgprAlpha+0+1], v[vgprValuC+12:vgprValuC+12+1] // 
v_mul_f64 v[26:27], s[sgprAlpha+2:sgprAlpha+2+1], v[vgprValuC+12:vgprValuC+12+1] // 
v_fma_f64 v[vgprValuC+12:vgprValuC+12+1], s[sgprAlpha+2:sgprAlpha+2+1], -v[vgprValuC+14:vgprValuC+14+1], v[24:25]
v_fma_f64 v[vgprValuC+14:vgprValuC+14+1], s[sgprAlpha+0:sgprAlpha+0+1], v[vgprValuC+14:vgprValuC+14+1], v[26:27]
v_mul_f64 v[24:25], s[sgprAlpha+0:sgprAlpha+0+1], v[vgprValuC+20:vgprValuC+20+1] // 
v_mul_f64 v[26:27], s[sgprAlpha+2:sgprAlpha+2+1], v[vgprValuC+20:vgprValuC+20+1] // 
v_fma_f64 v[vgprValuC+20:vgprValuC+20+1], s[sgprAlpha+2:sgprAlpha+2+1], -v[vgprValuC+22:vgprValuC+22+1], v[24:25]
v_fma_f64 v[vgprValuC+22:vgprValuC+22+1], s[sgprAlpha+0:sgprAlpha+0+1], v[vgprValuC+22:vgprValuC+22+1], v[26:27]

/* apply mask, calc new C and issue writes */

s_waitcnt vmcnt(1)                                 // wait C (interleaved) 1 = 2 - 0 + 0 - 1
v_fma_f64 v[vgprValuC+12:vgprValuC+12+1], v[8:9], s[sgprBeta+0:sgprBeta+0+1], v[vgprValuC+12:vgprValuC+12+1]
v_fma_f64 v[vgprValuC+12:vgprValuC+12+1], v[10:11], -s[sgprBeta+2:sgprBeta+2+1], v[vgprValuC+12:vgprValuC+12+1]
v_fma_f64 v[vgprValuC+14:vgprValuC+14+1], v[8:9], s[sgprBeta+2:sgprBeta+2+1], v[vgprValuC+14:vgprValuC+14+1]
v_fma_f64 v[vgprValuC+14:vgprValuC+14+1], v[10:11], s[sgprBeta+0:sgprBeta+0+1], v[vgprValuC+14:vgprValuC+14+1]
_buffer_store_b128 v[12:15], v6, s[sgprSrdD:sgprSrdD+3], 0, offen, offset:1024,  nt // store D

s_waitcnt vmcnt(1)                                 // wait C (interleaved) 1 = 2 - 1 + 1 - 1
v_fma_f64 v[vgprValuC+20:vgprValuC+20+1], v[16:17], s[sgprBeta+0:sgprBeta+0+1], v[vgprValuC+20:vgprValuC+20+1]
v_fma_f64 v[vgprValuC+20:vgprValuC+20+1], v[18:19], -s[sgprBeta+2:sgprBeta+2+1], v[vgprValuC+20:vgprValuC+20+1]
v_fma_f64 v[vgprValuC+22:vgprValuC+22+1], v[16:17], s[sgprBeta+2:sgprBeta+2+1], v[vgprValuC+22:vgprValuC+22+1]
v_fma_f64 v[vgprValuC+22:vgprValuC+22+1], v[18:19], s[sgprBeta+0:sgprBeta+0+1], v[vgprValuC+22:vgprValuC+22+1]
s_mul_i32 s60, s[sgprStrideD1J], 64                // scale StrideD *= numRows(4) * bpe
s_add_u32  s[sgprSrdD+0], s[sgprSrdD+0], s60       // incToNextRow: gra SRD += inc(lower)
s_addc_u32  s[sgprSrdD+1], s[sgprSrdD+1], 0        // incToNextRow: gra SRD += inc(upper)
_buffer_store_b128 v[20:23], v6, s[sgprSrdD:sgprSrdD+3], 0, offen, offset:0,  nt // store D
s_nop 0                                            // 1 wait state required when next inst writes vgprs held by previous dwordx4 store inst
/* optSingleColVgpr=1 optSharedColVgpr=0 optSGPRUsage=BufferLoad_Mask optSrdIncForRow=1 */
s_sleep 3 // optimization: sync and wait
s_barrier

/******************************************/
/* Global Write Alpha Beta Batch #17 (d1,d0,vc1,vc0) = */
/*    (11,1,0,0:vw1); (11,2,0,0:vw1)      */
/******************************************/

/* calc coords, apply mask, and issue loads (if necessary) */
/* (d1,vc1,d0,vc0)=(11,0,1,0) */
_buffer_load_b128 v[8:11], v7, s[sgprSrdC:sgprSrdC+3], 0, offen offset:512,  nt // load C for beta calc
/* (d1,vc1,d0,vc0)=(11,0,2,0) */
_buffer_load_b128 v[16:19], v7, s[sgprSrdC:sgprSrdC+3], 0, offen offset:1024,  nt // load C for beta calc
s_sleep 3 // optimization: sync and wait
s_barrier
v_accvgpr_read_b32 v[vgprValuC+12], acc62 // copy acc to vreg[136]
v_accvgpr_read_b32 v[vgprValuC+13], acc63 // copy acc to vreg[137]
v_accvgpr_read_b32 v[vgprValuC+14], acc158 // copy acc to vreg[138]
v_accvgpr_read_b32 v[vgprValuC+15], acc159 // copy acc to vreg[139]
v_accvgpr_read_b32 v[vgprValuC+20], acc70 // copy acc to vreg[140]
v_accvgpr_read_b32 v[vgprValuC+21], acc71 // copy acc to vreg[141]
v_accvgpr_read_b32 v[vgprValuC+22], acc166 // copy acc to vreg[142]
v_accvgpr_read_b32 v[vgprValuC+23], acc167 // copy acc to vreg[143]
s_nop 1                                            // 2 wait states required before reading vgpr

/* rC *= alpha batchElements=[(11, 1, 0, 0), (11, 2, 0, 0)] */
v_mul_f64 v[24:25], s[sgprAlpha+0:sgprAlpha+0+1], v[vgprValuC+12:vgprValuC+12+1] // 
v_mul_f64 v[26:27], s[sgprAlpha+2:sgprAlpha+2+1], v[vgprValuC+12:vgprValuC+12+1] // 
v_fma_f64 v[vgprValuC+12:vgprValuC+12+1], s[sgprAlpha+2:sgprAlpha+2+1], -v[vgprValuC+14:vgprValuC+14+1], v[24:25]
v_fma_f64 v[vgprValuC+14:vgprValuC+14+1], s[sgprAlpha+0:sgprAlpha+0+1], v[vgprValuC+14:vgprValuC+14+1], v[26:27]
v_mul_f64 v[24:25], s[sgprAlpha+0:sgprAlpha+0+1], v[vgprValuC+20:vgprValuC+20+1] // 
v_mul_f64 v[26:27], s[sgprAlpha+2:sgprAlpha+2+1], v[vgprValuC+20:vgprValuC+20+1] // 
v_fma_f64 v[vgprValuC+20:vgprValuC+20+1], s[sgprAlpha+2:sgprAlpha+2+1], -v[vgprValuC+22:vgprValuC+22+1], v[24:25]
v_fma_f64 v[vgprValuC+22:vgprValuC+22+1], s[sgprAlpha+0:sgprAlpha+0+1], v[vgprValuC+22:vgprValuC+22+1], v[26:27]

/* apply mask, calc new C and issue writes */

s_waitcnt vmcnt(1)                                 // wait C (interleaved) 1 = 2 - 0 + 0 - 1
v_fma_f64 v[vgprValuC+12:vgprValuC+12+1], v[8:9], s[sgprBeta+0:sgprBeta+0+1], v[vgprValuC+12:vgprValuC+12+1]
v_fma_f64 v[vgprValuC+12:vgprValuC+12+1], v[10:11], -s[sgprBeta+2:sgprBeta+2+1], v[vgprValuC+12:vgprValuC+12+1]
v_fma_f64 v[vgprValuC+14:vgprValuC+14+1], v[8:9], s[sgprBeta+2:sgprBeta+2+1], v[vgprValuC+14:vgprValuC+14+1]
v_fma_f64 v[vgprValuC+14:vgprValuC+14+1], v[10:11], s[sgprBeta+0:sgprBeta+0+1], v[vgprValuC+14:vgprValuC+14+1]
_buffer_store_b128 v[12:15], v6, s[sgprSrdD:sgprSrdD+3], 0, offen, offset:512,  nt // store D

s_waitcnt vmcnt(1)                                 // wait C (interleaved) 1 = 2 - 1 + 1 - 1
v_fma_f64 v[vgprValuC+20:vgprValuC+20+1], v[16:17], s[sgprBeta+0:sgprBeta+0+1], v[vgprValuC+20:vgprValuC+20+1]
v_fma_f64 v[vgprValuC+20:vgprValuC+20+1], v[18:19], -s[sgprBeta+2:sgprBeta+2+1], v[vgprValuC+20:vgprValuC+20+1]
v_fma_f64 v[vgprValuC+22:vgprValuC+22+1], v[16:17], s[sgprBeta+2:sgprBeta+2+1], v[vgprValuC+22:vgprValuC+22+1]
v_fma_f64 v[vgprValuC+22:vgprValuC+22+1], v[18:19], s[sgprBeta+0:sgprBeta+0+1], v[vgprValuC+22:vgprValuC+22+1]
_buffer_store_b128 v[20:23], v6, s[sgprSrdD:sgprSrdD+3], 0, offen, offset:1024,  nt // store D
s_nop 0                                            // 1 wait state required when next inst writes vgprs held by previous dwordx4 store inst
/* optSingleColVgpr=1 optSharedColVgpr=0 optSGPRUsage=BufferLoad_Mask optSrdIncForRow=1 */
s_sleep 3 // optimization: sync and wait
s_barrier

/******************************************/
/* Global Write Alpha Beta Batch #18 (d1,d0,vc1,vc0) = */
/*    (12,0,0,0:vw1); (12,1,0,0:vw1)      */
/******************************************/

/* calc coords, apply mask, and issue loads (if necessary) */
/* (d1,vc1,d0,vc0)=(12,0,0,0) */
s_mul_i32 s60, s[sgprStrideC1J], 320               // scale StrideC *= numRows(20) * bpe
s_add_u32  s[sgprSrdC+0], s[sgprSrdC+0], s60       // incToNextRow: gra SRD += inc(lower)
s_addc_u32  s[sgprSrdC+1], s[sgprSrdC+1], 0        // incToNextRow: gra SRD += inc(upper)
_buffer_load_b128 v[8:11], v7, s[sgprSrdC:sgprSrdC+3], 0, offen offset:0,  nt // load C for beta calc
/* (d1,vc1,d0,vc0)=(12,0,1,0) */
_buffer_load_b128 v[16:19], v7, s[sgprSrdC:sgprSrdC+3], 0, offen offset:512,  nt // load C for beta calc
s_sleep 3 // optimization: sync and wait
s_barrier
v_accvgpr_read_b32 v[vgprValuC+12], acc72 // copy acc to vreg[144]
v_accvgpr_read_b32 v[vgprValuC+13], acc73 // copy acc to vreg[145]
v_accvgpr_read_b32 v[vgprValuC+14], acc168 // copy acc to vreg[146]
v_accvgpr_read_b32 v[vgprValuC+15], acc169 // copy acc to vreg[147]
v_accvgpr_read_b32 v[vgprValuC+20], acc80 // copy acc to vreg[148]
v_accvgpr_read_b32 v[vgprValuC+21], acc81 // copy acc to vreg[149]
v_accvgpr_read_b32 v[vgprValuC+22], acc176 // copy acc to vreg[150]
v_accvgpr_read_b32 v[vgprValuC+23], acc177 // copy acc to vreg[151]
s_nop 1                                            // 2 wait states required before reading vgpr

/* rC *= alpha batchElements=[(12, 0, 0, 0), (12, 1, 0, 0)] */
v_mul_f64 v[24:25], s[sgprAlpha+0:sgprAlpha+0+1], v[vgprValuC+12:vgprValuC+12+1] // 
v_mul_f64 v[26:27], s[sgprAlpha+2:sgprAlpha+2+1], v[vgprValuC+12:vgprValuC+12+1] // 
v_fma_f64 v[vgprValuC+12:vgprValuC+12+1], s[sgprAlpha+2:sgprAlpha+2+1], -v[vgprValuC+14:vgprValuC+14+1], v[24:25]
v_fma_f64 v[vgprValuC+14:vgprValuC+14+1], s[sgprAlpha+0:sgprAlpha+0+1], v[vgprValuC+14:vgprValuC+14+1], v[26:27]
v_mul_f64 v[24:25], s[sgprAlpha+0:sgprAlpha+0+1], v[vgprValuC+20:vgprValuC+20+1] // 
v_mul_f64 v[26:27], s[sgprAlpha+2:sgprAlpha+2+1], v[vgprValuC+20:vgprValuC+20+1] // 
v_fma_f64 v[vgprValuC+20:vgprValuC+20+1], s[sgprAlpha+2:sgprAlpha+2+1], -v[vgprValuC+22:vgprValuC+22+1], v[24:25]
v_fma_f64 v[vgprValuC+22:vgprValuC+22+1], s[sgprAlpha+0:sgprAlpha+0+1], v[vgprValuC+22:vgprValuC+22+1], v[26:27]

/* apply mask, calc new C and issue writes */

s_waitcnt vmcnt(1)                                 // wait C (interleaved) 1 = 2 - 0 + 0 - 1
v_fma_f64 v[vgprValuC+12:vgprValuC+12+1], v[8:9], s[sgprBeta+0:sgprBeta+0+1], v[vgprValuC+12:vgprValuC+12+1]
v_fma_f64 v[vgprValuC+12:vgprValuC+12+1], v[10:11], -s[sgprBeta+2:sgprBeta+2+1], v[vgprValuC+12:vgprValuC+12+1]
v_fma_f64 v[vgprValuC+14:vgprValuC+14+1], v[8:9], s[sgprBeta+2:sgprBeta+2+1], v[vgprValuC+14:vgprValuC+14+1]
v_fma_f64 v[vgprValuC+14:vgprValuC+14+1], v[10:11], s[sgprBeta+0:sgprBeta+0+1], v[vgprValuC+14:vgprValuC+14+1]
s_mul_i32 s60, s[sgprStrideD1J], 320               // scale StrideD *= numRows(20) * bpe
s_add_u32  s[sgprSrdD+0], s[sgprSrdD+0], s60       // incToNextRow: gra SRD += inc(lower)
s_addc_u32  s[sgprSrdD+1], s[sgprSrdD+1], 0        // incToNextRow: gra SRD += inc(upper)
_buffer_store_b128 v[12:15], v6, s[sgprSrdD:sgprSrdD+3], 0, offen, offset:0,  nt // store D

s_waitcnt vmcnt(1)                                 // wait C (interleaved) 1 = 2 - 1 + 1 - 1
v_fma_f64 v[vgprValuC+20:vgprValuC+20+1], v[16:17], s[sgprBeta+0:sgprBeta+0+1], v[vgprValuC+20:vgprValuC+20+1]
v_fma_f64 v[vgprValuC+20:vgprValuC+20+1], v[18:19], -s[sgprBeta+2:sgprBeta+2+1], v[vgprValuC+20:vgprValuC+20+1]
v_fma_f64 v[vgprValuC+22:vgprValuC+22+1], v[16:17], s[sgprBeta+2:sgprBeta+2+1], v[vgprValuC+22:vgprValuC+22+1]
v_fma_f64 v[vgprValuC+22:vgprValuC+22+1], v[18:19], s[sgprBeta+0:sgprBeta+0+1], v[vgprValuC+22:vgprValuC+22+1]
_buffer_store_b128 v[20:23], v6, s[sgprSrdD:sgprSrdD+3], 0, offen, offset:512,  nt // store D
s_nop 0                                            // 1 wait state required when next inst writes vgprs held by previous dwordx4 store inst
/* optSingleColVgpr=1 optSharedColVgpr=0 optSGPRUsage=BufferLoad_Mask optSrdIncForRow=1 */
s_sleep 3 // optimization: sync and wait
s_barrier

/******************************************/
/* Global Write Alpha Beta Batch #19 (d1,d0,vc1,vc0) = */
/*    (12,2,0,0:vw1); (13,0,0,0:vw1)      */
/******************************************/

/* calc coords, apply mask, and issue loads (if necessary) */
/* (d1,vc1,d0,vc0)=(12,0,2,0) */
_buffer_load_b128 v[8:11], v7, s[sgprSrdC:sgprSrdC+3], 0, offen offset:1024,  nt // load C for beta calc
/* (d1,vc1,d0,vc0)=(13,0,0,0) */
s_mul_i32 s60, s[sgprStrideC1J], 64                // scale StrideC *= numRows(4) * bpe
s_add_u32  s[sgprSrdC+0], s[sgprSrdC+0], s60       // incToNextRow: gra SRD += inc(lower)
s_addc_u32  s[sgprSrdC+1], s[sgprSrdC+1], 0        // incToNextRow: gra SRD += inc(upper)
_buffer_load_b128 v[16:19], v7, s[sgprSrdC:sgprSrdC+3], 0, offen offset:0,  nt // load C for beta calc
s_sleep 3 // optimization: sync and wait
s_barrier
v_accvgpr_read_b32 v[vgprValuC+12], acc88 // copy acc to vreg[152]
v_accvgpr_read_b32 v[vgprValuC+13], acc89 // copy acc to vreg[153]
v_accvgpr_read_b32 v[vgprValuC+14], acc184 // copy acc to vreg[154]
v_accvgpr_read_b32 v[vgprValuC+15], acc185 // copy acc to vreg[155]
v_accvgpr_read_b32 v[vgprValuC+20], acc74 // copy acc to vreg[156]
v_accvgpr_read_b32 v[vgprValuC+21], acc75 // copy acc to vreg[157]
v_accvgpr_read_b32 v[vgprValuC+22], acc170 // copy acc to vreg[158]
v_accvgpr_read_b32 v[vgprValuC+23], acc171 // copy acc to vreg[159]
s_nop 1                                            // 2 wait states required before reading vgpr

/* rC *= alpha batchElements=[(12, 2, 0, 0), (13, 0, 0, 0)] */
v_mul_f64 v[24:25], s[sgprAlpha+0:sgprAlpha+0+1], v[vgprValuC+12:vgprValuC+12+1] // 
v_mul_f64 v[26:27], s[sgprAlpha+2:sgprAlpha+2+1], v[vgprValuC+12:vgprValuC+12+1] // 
v_fma_f64 v[vgprValuC+12:vgprValuC+12+1], s[sgprAlpha+2:sgprAlpha+2+1], -v[vgprValuC+14:vgprValuC+14+1], v[24:25]
v_fma_f64 v[vgprValuC+14:vgprValuC+14+1], s[sgprAlpha+0:sgprAlpha+0+1], v[vgprValuC+14:vgprValuC+14+1], v[26:27]
v_mul_f64 v[24:25], s[sgprAlpha+0:sgprAlpha+0+1], v[vgprValuC+20:vgprValuC+20+1] // 
v_mul_f64 v[26:27], s[sgprAlpha+2:sgprAlpha+2+1], v[vgprValuC+20:vgprValuC+20+1] // 
v_fma_f64 v[vgprValuC+20:vgprValuC+20+1], s[sgprAlpha+2:sgprAlpha+2+1], -v[vgprValuC+22:vgprValuC+22+1], v[24:25]
v_fma_f64 v[vgprValuC+22:vgprValuC+22+1], s[sgprAlpha+0:sgprAlpha+0+1], v[vgprValuC+22:vgprValuC+22+1], v[26:27]

/* apply mask, calc new C and issue writes */

s_waitcnt vmcnt(1)                                 // wait C (interleaved) 1 = 2 - 0 + 0 - 1
v_fma_f64 v[vgprValuC+12:vgprValuC+12+1], v[8:9], s[sgprBeta+0:sgprBeta+0+1], v[vgprValuC+12:vgprValuC+12+1]
v_fma_f64 v[vgprValuC+12:vgprValuC+12+1], v[10:11], -s[sgprBeta+2:sgprBeta+2+1], v[vgprValuC+12:vgprValuC+12+1]
v_fma_f64 v[vgprValuC+14:vgprValuC+14+1], v[8:9], s[sgprBeta+2:sgprBeta+2+1], v[vgprValuC+14:vgprValuC+14+1]
v_fma_f64 v[vgprValuC+14:vgprValuC+14+1], v[10:11], s[sgprBeta+0:sgprBeta+0+1], v[vgprValuC+14:vgprValuC+14+1]
_buffer_store_b128 v[12:15], v6, s[sgprSrdD:sgprSrdD+3], 0, offen, offset:1024,  nt // store D

s_waitcnt vmcnt(1)                                 // wait C (interleaved) 1 = 2 - 1 + 1 - 1
v_fma_f64 v[vgprValuC+20:vgprValuC+20+1], v[16:17], s[sgprBeta+0:sgprBeta+0+1], v[vgprValuC+20:vgprValuC+20+1]
v_fma_f64 v[vgprValuC+20:vgprValuC+20+1], v[18:19], -s[sgprBeta+2:sgprBeta+2+1], v[vgprValuC+20:vgprValuC+20+1]
v_fma_f64 v[vgprValuC+22:vgprValuC+22+1], v[16:17], s[sgprBeta+2:sgprBeta+2+1], v[vgprValuC+22:vgprValuC+22+1]
v_fma_f64 v[vgprValuC+22:vgprValuC+22+1], v[18:19], s[sgprBeta+0:sgprBeta+0+1], v[vgprValuC+22:vgprValuC+22+1]
s_mul_i32 s60, s[sgprStrideD1J], 64                // scale StrideD *= numRows(4) * bpe
s_add_u32  s[sgprSrdD+0], s[sgprSrdD+0], s60       // incToNextRow: gra SRD += inc(lower)
s_addc_u32  s[sgprSrdD+1], s[sgprSrdD+1], 0        // incToNextRow: gra SRD += inc(upper)
_buffer_store_b128 v[20:23], v6, s[sgprSrdD:sgprSrdD+3], 0, offen, offset:0,  nt // store D
s_nop 0                                            // 1 wait state required when next inst writes vgprs held by previous dwordx4 store inst
/* optSingleColVgpr=1 optSharedColVgpr=0 optSGPRUsage=BufferLoad_Mask optSrdIncForRow=1 */
s_sleep 3 // optimization: sync and wait
s_barrier

/******************************************/
/* Global Write Alpha Beta Batch #20 (d1,d0,vc1,vc0) = */
/*    (13,1,0,0:vw1); (13,2,0,0:vw1)      */
/******************************************/

/* calc coords, apply mask, and issue loads (if necessary) */
/* (d1,vc1,d0,vc0)=(13,0,1,0) */
_buffer_load_b128 v[8:11], v7, s[sgprSrdC:sgprSrdC+3], 0, offen offset:512,  nt // load C for beta calc
/* (d1,vc1,d0,vc0)=(13,0,2,0) */
_buffer_load_b128 v[16:19], v7, s[sgprSrdC:sgprSrdC+3], 0, offen offset:1024,  nt // load C for beta calc
s_sleep 3 // optimization: sync and wait
s_barrier
v_accvgpr_read_b32 v[vgprValuC+12], acc82 // copy acc to vreg[160]
v_accvgpr_read_b32 v[vgprValuC+13], acc83 // copy acc to vreg[161]
v_accvgpr_read_b32 v[vgprValuC+14], acc178 // copy acc to vreg[162]
v_accvgpr_read_b32 v[vgprValuC+15], acc179 // copy acc to vreg[163]
v_accvgpr_read_b32 v[vgprValuC+20], acc90 // copy acc to vreg[164]
v_accvgpr_read_b32 v[vgprValuC+21], acc91 // copy acc to vreg[165]
v_accvgpr_read_b32 v[vgprValuC+22], acc186 // copy acc to vreg[166]
v_accvgpr_read_b32 v[vgprValuC+23], acc187 // copy acc to vreg[167]
s_nop 1                                            // 2 wait states required before reading vgpr

/* rC *= alpha batchElements=[(13, 1, 0, 0), (13, 2, 0, 0)] */
v_mul_f64 v[24:25], s[sgprAlpha+0:sgprAlpha+0+1], v[vgprValuC+12:vgprValuC+12+1] // 
v_mul_f64 v[26:27], s[sgprAlpha+2:sgprAlpha+2+1], v[vgprValuC+12:vgprValuC+12+1] // 
v_fma_f64 v[vgprValuC+12:vgprValuC+12+1], s[sgprAlpha+2:sgprAlpha+2+1], -v[vgprValuC+14:vgprValuC+14+1], v[24:25]
v_fma_f64 v[vgprValuC+14:vgprValuC+14+1], s[sgprAlpha+0:sgprAlpha+0+1], v[vgprValuC+14:vgprValuC+14+1], v[26:27]
v_mul_f64 v[24:25], s[sgprAlpha+0:sgprAlpha+0+1], v[vgprValuC+20:vgprValuC+20+1] // 
v_mul_f64 v[26:27], s[sgprAlpha+2:sgprAlpha+2+1], v[vgprValuC+20:vgprValuC+20+1] // 
v_fma_f64 v[vgprValuC+20:vgprValuC+20+1], s[sgprAlpha+2:sgprAlpha+2+1], -v[vgprValuC+22:vgprValuC+22+1], v[24:25]
v_fma_f64 v[vgprValuC+22:vgprValuC+22+1], s[sgprAlpha+0:sgprAlpha+0+1], v[vgprValuC+22:vgprValuC+22+1], v[26:27]

/* apply mask, calc new C and issue writes */

s_waitcnt vmcnt(1)                                 // wait C (interleaved) 1 = 2 - 0 + 0 - 1
v_fma_f64 v[vgprValuC+12:vgprValuC+12+1], v[8:9], s[sgprBeta+0:sgprBeta+0+1], v[vgprValuC+12:vgprValuC+12+1]
v_fma_f64 v[vgprValuC+12:vgprValuC+12+1], v[10:11], -s[sgprBeta+2:sgprBeta+2+1], v[vgprValuC+12:vgprValuC+12+1]
v_fma_f64 v[vgprValuC+14:vgprValuC+14+1], v[8:9], s[sgprBeta+2:sgprBeta+2+1], v[vgprValuC+14:vgprValuC+14+1]
v_fma_f64 v[vgprValuC+14:vgprValuC+14+1], v[10:11], s[sgprBeta+0:sgprBeta+0+1], v[vgprValuC+14:vgprValuC+14+1]
_buffer_store_b128 v[12:15], v6, s[sgprSrdD:sgprSrdD+3], 0, offen, offset:512,  nt // store D

s_waitcnt vmcnt(1)                                 // wait C (interleaved) 1 = 2 - 1 + 1 - 1
v_fma_f64 v[vgprValuC+20:vgprValuC+20+1], v[16:17], s[sgprBeta+0:sgprBeta+0+1], v[vgprValuC+20:vgprValuC+20+1]
v_fma_f64 v[vgprValuC+20:vgprValuC+20+1], v[18:19], -s[sgprBeta+2:sgprBeta+2+1], v[vgprValuC+20:vgprValuC+20+1]
v_fma_f64 v[vgprValuC+22:vgprValuC+22+1], v[16:17], s[sgprBeta+2:sgprBeta+2+1], v[vgprValuC+22:vgprValuC+22+1]
v_fma_f64 v[vgprValuC+22:vgprValuC+22+1], v[18:19], s[sgprBeta+0:sgprBeta+0+1], v[vgprValuC+22:vgprValuC+22+1]
_buffer_store_b128 v[20:23], v6, s[sgprSrdD:sgprSrdD+3], 0, offen, offset:1024,  nt // store D
s_nop 0                                            // 1 wait state required when next inst writes vgprs held by previous dwordx4 store inst
/* optSingleColVgpr=1 optSharedColVgpr=0 optSGPRUsage=BufferLoad_Mask optSrdIncForRow=1 */
s_sleep 3 // optimization: sync and wait
s_barrier

/******************************************/
/* Global Write Alpha Beta Batch #21 (d1,d0,vc1,vc0) = */
/*    (14,0,0,0:vw1); (14,1,0,0:vw1)      */
/******************************************/

/* calc coords, apply mask, and issue loads (if necessary) */
/* (d1,vc1,d0,vc0)=(14,0,0,0) */
s_mul_i32 s60, s[sgprStrideC1J], 64                // scale StrideC *= numRows(4) * bpe
s_add_u32  s[sgprSrdC+0], s[sgprSrdC+0], s60       // incToNextRow: gra SRD += inc(lower)
s_addc_u32  s[sgprSrdC+1], s[sgprSrdC+1], 0        // incToNextRow: gra SRD += inc(upper)
_buffer_load_b128 v[8:11], v7, s[sgprSrdC:sgprSrdC+3], 0, offen offset:0,  nt // load C for beta calc
/* (d1,vc1,d0,vc0)=(14,0,1,0) */
_buffer_load_b128 v[16:19], v7, s[sgprSrdC:sgprSrdC+3], 0, offen offset:512,  nt // load C for beta calc
s_sleep 3 // optimization: sync and wait
s_barrier
v_accvgpr_read_b32 v[vgprValuC+12], acc76 // copy acc to vreg[168]
v_accvgpr_read_b32 v[vgprValuC+13], acc77 // copy acc to vreg[169]
v_accvgpr_read_b32 v[vgprValuC+14], acc172 // copy acc to vreg[170]
v_accvgpr_read_b32 v[vgprValuC+15], acc173 // copy acc to vreg[171]
v_accvgpr_read_b32 v[vgprValuC+20], acc84 // copy acc to vreg[172]
v_accvgpr_read_b32 v[vgprValuC+21], acc85 // copy acc to vreg[173]
v_accvgpr_read_b32 v[vgprValuC+22], acc180 // copy acc to vreg[174]
v_accvgpr_read_b32 v[vgprValuC+23], acc181 // copy acc to vreg[175]
s_nop 1                                            // 2 wait states required before reading vgpr

/* rC *= alpha batchElements=[(14, 0, 0, 0), (14, 1, 0, 0)] */
v_mul_f64 v[24:25], s[sgprAlpha+0:sgprAlpha+0+1], v[vgprValuC+12:vgprValuC+12+1] // 
v_mul_f64 v[26:27], s[sgprAlpha+2:sgprAlpha+2+1], v[vgprValuC+12:vgprValuC+12+1] // 
v_fma_f64 v[vgprValuC+12:vgprValuC+12+1], s[sgprAlpha+2:sgprAlpha+2+1], -v[vgprValuC+14:vgprValuC+14+1], v[24:25]
v_fma_f64 v[vgprValuC+14:vgprValuC+14+1], s[sgprAlpha+0:sgprAlpha+0+1], v[vgprValuC+14:vgprValuC+14+1], v[26:27]
v_mul_f64 v[24:25], s[sgprAlpha+0:sgprAlpha+0+1], v[vgprValuC+20:vgprValuC+20+1] // 
v_mul_f64 v[26:27], s[sgprAlpha+2:sgprAlpha+2+1], v[vgprValuC+20:vgprValuC+20+1] // 
v_fma_f64 v[vgprValuC+20:vgprValuC+20+1], s[sgprAlpha+2:sgprAlpha+2+1], -v[vgprValuC+22:vgprValuC+22+1], v[24:25]
v_fma_f64 v[vgprValuC+22:vgprValuC+22+1], s[sgprAlpha+0:sgprAlpha+0+1], v[vgprValuC+22:vgprValuC+22+1], v[26:27]

/* apply mask, calc new C and issue writes */

s_waitcnt vmcnt(1)                                 // wait C (interleaved) 1 = 2 - 0 + 0 - 1
v_fma_f64 v[vgprValuC+12:vgprValuC+12+1], v[8:9], s[sgprBeta+0:sgprBeta+0+1], v[vgprValuC+12:vgprValuC+12+1]
v_fma_f64 v[vgprValuC+12:vgprValuC+12+1], v[10:11], -s[sgprBeta+2:sgprBeta+2+1], v[vgprValuC+12:vgprValuC+12+1]
v_fma_f64 v[vgprValuC+14:vgprValuC+14+1], v[8:9], s[sgprBeta+2:sgprBeta+2+1], v[vgprValuC+14:vgprValuC+14+1]
v_fma_f64 v[vgprValuC+14:vgprValuC+14+1], v[10:11], s[sgprBeta+0:sgprBeta+0+1], v[vgprValuC+14:vgprValuC+14+1]
s_mul_i32 s60, s[sgprStrideD1J], 64                // scale StrideD *= numRows(4) * bpe
s_add_u32  s[sgprSrdD+0], s[sgprSrdD+0], s60       // incToNextRow: gra SRD += inc(lower)
s_addc_u32  s[sgprSrdD+1], s[sgprSrdD+1], 0        // incToNextRow: gra SRD += inc(upper)
_buffer_store_b128 v[12:15], v6, s[sgprSrdD:sgprSrdD+3], 0, offen, offset:0,  nt // store D

s_waitcnt vmcnt(1)                                 // wait C (interleaved) 1 = 2 - 1 + 1 - 1
v_fma_f64 v[vgprValuC+20:vgprValuC+20+1], v[16:17], s[sgprBeta+0:sgprBeta+0+1], v[vgprValuC+20:vgprValuC+20+1]
v_fma_f64 v[vgprValuC+20:vgprValuC+20+1], v[18:19], -s[sgprBeta+2:sgprBeta+2+1], v[vgprValuC+20:vgprValuC+20+1]
v_fma_f64 v[vgprValuC+22:vgprValuC+22+1], v[16:17], s[sgprBeta+2:sgprBeta+2+1], v[vgprValuC+22:vgprValuC+22+1]
v_fma_f64 v[vgprValuC+22:vgprValuC+22+1], v[18:19], s[sgprBeta+0:sgprBeta+0+1], v[vgprValuC+22:vgprValuC+22+1]
_buffer_store_b128 v[20:23], v6, s[sgprSrdD:sgprSrdD+3], 0, offen, offset:512,  nt // store D
s_nop 0                                            // 1 wait state required when next inst writes vgprs held by previous dwordx4 store inst
/* optSingleColVgpr=1 optSharedColVgpr=0 optSGPRUsage=BufferLoad_Mask optSrdIncForRow=1 */
s_sleep 3 // optimization: sync and wait
s_barrier

/******************************************/
/* Global Write Alpha Beta Batch #22 (d1,d0,vc1,vc0) = */
/*    (14,2,0,0:vw1); (15,0,0,0:vw1)      */
/******************************************/

/* calc coords, apply mask, and issue loads (if necessary) */
/* (d1,vc1,d0,vc0)=(14,0,2,0) */
_buffer_load_b128 v[8:11], v7, s[sgprSrdC:sgprSrdC+3], 0, offen offset:1024,  nt // load C for beta calc
/* (d1,vc1,d0,vc0)=(15,0,0,0) */
s_mul_i32 s60, s[sgprStrideC1J], 64                // scale StrideC *= numRows(4) * bpe
s_add_u32  s[sgprSrdC+0], s[sgprSrdC+0], s60       // incToNextRow: gra SRD += inc(lower)
s_addc_u32  s[sgprSrdC+1], s[sgprSrdC+1], 0        // incToNextRow: gra SRD += inc(upper)
_buffer_load_b128 v[16:19], v7, s[sgprSrdC:sgprSrdC+3], 0, offen offset:0,  nt // load C for beta calc
s_sleep 3 // optimization: sync and wait
s_barrier
v_accvgpr_read_b32 v[vgprValuC+12], acc92 // copy acc to vreg[176]
v_accvgpr_read_b32 v[vgprValuC+13], acc93 // copy acc to vreg[177]
v_accvgpr_read_b32 v[vgprValuC+14], acc188 // copy acc to vreg[178]
v_accvgpr_read_b32 v[vgprValuC+15], acc189 // copy acc to vreg[179]
v_accvgpr_read_b32 v[vgprValuC+20], acc78 // copy acc to vreg[180]
v_accvgpr_read_b32 v[vgprValuC+21], acc79 // copy acc to vreg[181]
v_accvgpr_read_b32 v[vgprValuC+22], acc174 // copy acc to vreg[182]
v_accvgpr_read_b32 v[vgprValuC+23], acc175 // copy acc to vreg[183]
s_nop 1                                            // 2 wait states required before reading vgpr

/* rC *= alpha batchElements=[(14, 2, 0, 0), (15, 0, 0, 0)] */
v_mul_f64 v[24:25], s[sgprAlpha+0:sgprAlpha+0+1], v[vgprValuC+12:vgprValuC+12+1] // 
v_mul_f64 v[26:27], s[sgprAlpha+2:sgprAlpha+2+1], v[vgprValuC+12:vgprValuC+12+1] // 
v_fma_f64 v[vgprValuC+12:vgprValuC+12+1], s[sgprAlpha+2:sgprAlpha+2+1], -v[vgprValuC+14:vgprValuC+14+1], v[24:25]
v_fma_f64 v[vgprValuC+14:vgprValuC+14+1], s[sgprAlpha+0:sgprAlpha+0+1], v[vgprValuC+14:vgprValuC+14+1], v[26:27]
v_mul_f64 v[24:25], s[sgprAlpha+0:sgprAlpha+0+1], v[vgprValuC+20:vgprValuC+20+1] // 
v_mul_f64 v[26:27], s[sgprAlpha+2:sgprAlpha+2+1], v[vgprValuC+20:vgprValuC+20+1] // 
v_fma_f64 v[vgprValuC+20:vgprValuC+20+1], s[sgprAlpha+2:sgprAlpha+2+1], -v[vgprValuC+22:vgprValuC+22+1], v[24:25]
v_fma_f64 v[vgprValuC+22:vgprValuC+22+1], s[sgprAlpha+0:sgprAlpha+0+1], v[vgprValuC+22:vgprValuC+22+1], v[26:27]

/* apply mask, calc new C and issue writes */

s_waitcnt vmcnt(1)                                 // wait C (interleaved) 1 = 2 - 0 + 0 - 1
v_fma_f64 v[vgprValuC+12:vgprValuC+12+1], v[8:9], s[sgprBeta+0:sgprBeta+0+1], v[vgprValuC+12:vgprValuC+12+1]
v_fma_f64 v[vgprValuC+12:vgprValuC+12+1], v[10:11], -s[sgprBeta+2:sgprBeta+2+1], v[vgprValuC+12:vgprValuC+12+1]
v_fma_f64 v[vgprValuC+14:vgprValuC+14+1], v[8:9], s[sgprBeta+2:sgprBeta+2+1], v[vgprValuC+14:vgprValuC+14+1]
v_fma_f64 v[vgprValuC+14:vgprValuC+14+1], v[10:11], s[sgprBeta+0:sgprBeta+0+1], v[vgprValuC+14:vgprValuC+14+1]
_buffer_store_b128 v[12:15], v6, s[sgprSrdD:sgprSrdD+3], 0, offen, offset:1024,  nt // store D

s_waitcnt vmcnt(1)                                 // wait C (interleaved) 1 = 2 - 1 + 1 - 1
v_fma_f64 v[vgprValuC+20:vgprValuC+20+1], v[16:17], s[sgprBeta+0:sgprBeta+0+1], v[vgprValuC+20:vgprValuC+20+1]
v_fma_f64 v[vgprValuC+20:vgprValuC+20+1], v[18:19], -s[sgprBeta+2:sgprBeta+2+1], v[vgprValuC+20:vgprValuC+20+1]
v_fma_f64 v[vgprValuC+22:vgprValuC+22+1], v[16:17], s[sgprBeta+2:sgprBeta+2+1], v[vgprValuC+22:vgprValuC+22+1]
v_fma_f64 v[vgprValuC+22:vgprValuC+22+1], v[18:19], s[sgprBeta+0:sgprBeta+0+1], v[vgprValuC+22:vgprValuC+22+1]
s_mul_i32 s60, s[sgprStrideD1J], 64                // scale StrideD *= numRows(4) * bpe
s_add_u32  s[sgprSrdD+0], s[sgprSrdD+0], s60       // incToNextRow: gra SRD += inc(lower)
s_addc_u32  s[sgprSrdD+1], s[sgprSrdD+1], 0        // incToNextRow: gra SRD += inc(upper)
_buffer_store_b128 v[20:23], v6, s[sgprSrdD:sgprSrdD+3], 0, offen, offset:0,  nt // store D
s_nop 0                                            // 1 wait state required when next inst writes vgprs held by previous dwordx4 store inst
/* optSingleColVgpr=1 optSharedColVgpr=0 optSGPRUsage=BufferLoad_Mask optSrdIncForRow=1 */
s_sleep 3 // optimization: sync and wait
s_barrier

/******************************************/
/* Global Write Alpha Beta Batch #23 (d1,d0,vc1,vc0) = */
/*    (15,1,0,0:vw1); (15,2,0,0:vw1)      */
/******************************************/

/* calc coords, apply mask, and issue loads (if necessary) */
/* (d1,vc1,d0,vc0)=(15,0,1,0) */
_buffer_load_b128 v[8:11], v7, s[sgprSrdC:sgprSrdC+3], 0, offen offset:512,  nt // load C for beta calc
/* (d1,vc1,d0,vc0)=(15,0,2,0) */
_buffer_load_b128 v[16:19], v7, s[sgprSrdC:sgprSrdC+3], 0, offen offset:1024,  nt // load C for beta calc
s_sleep 3 // optimization: sync and wait
s_barrier
v_accvgpr_read_b32 v[vgprValuC+12], acc86 // copy acc to vreg[184]
v_accvgpr_read_b32 v[vgprValuC+13], acc87 // copy acc to vreg[185]
v_accvgpr_read_b32 v[vgprValuC+14], acc182 // copy acc to vreg[186]
v_accvgpr_read_b32 v[vgprValuC+15], acc183 // copy acc to vreg[187]
v_accvgpr_read_b32 v[vgprValuC+20], acc94 // copy acc to vreg[188]
v_accvgpr_read_b32 v[vgprValuC+21], acc95 // copy acc to vreg[189]
v_accvgpr_read_b32 v[vgprValuC+22], acc190 // copy acc to vreg[190]
v_accvgpr_read_b32 v[vgprValuC+23], acc191 // copy acc to vreg[191]
s_nop 1                                            // 2 wait states required before reading vgpr

/* rC *= alpha batchElements=[(15, 1, 0, 0), (15, 2, 0, 0)] */
v_mul_f64 v[24:25], s[sgprAlpha+0:sgprAlpha+0+1], v[vgprValuC+12:vgprValuC+12+1] // 
v_mul_f64 v[26:27], s[sgprAlpha+2:sgprAlpha+2+1], v[vgprValuC+12:vgprValuC+12+1] // 
v_fma_f64 v[vgprValuC+12:vgprValuC+12+1], s[sgprAlpha+2:sgprAlpha+2+1], -v[vgprValuC+14:vgprValuC+14+1], v[24:25]
v_fma_f64 v[vgprValuC+14:vgprValuC+14+1], s[sgprAlpha+0:sgprAlpha+0+1], v[vgprValuC+14:vgprValuC+14+1], v[26:27]
v_mul_f64 v[24:25], s[sgprAlpha+0:sgprAlpha+0+1], v[vgprValuC+20:vgprValuC+20+1] // 
v_mul_f64 v[26:27], s[sgprAlpha+2:sgprAlpha+2+1], v[vgprValuC+20:vgprValuC+20+1] // 
v_fma_f64 v[vgprValuC+20:vgprValuC+20+1], s[sgprAlpha+2:sgprAlpha+2+1], -v[vgprValuC+22:vgprValuC+22+1], v[24:25]
v_fma_f64 v[vgprValuC+22:vgprValuC+22+1], s[sgprAlpha+0:sgprAlpha+0+1], v[vgprValuC+22:vgprValuC+22+1], v[26:27]

/* apply mask, calc new C and issue writes */

s_waitcnt vmcnt(1)                                 // wait C (interleaved) 1 = 2 - 0 + 0 - 1
v_fma_f64 v[vgprValuC+12:vgprValuC+12+1], v[8:9], s[sgprBeta+0:sgprBeta+0+1], v[vgprValuC+12:vgprValuC+12+1]
v_fma_f64 v[vgprValuC+12:vgprValuC+12+1], v[10:11], -s[sgprBeta+2:sgprBeta+2+1], v[vgprValuC+12:vgprValuC+12+1]
v_fma_f64 v[vgprValuC+14:vgprValuC+14+1], v[8:9], s[sgprBeta+2:sgprBeta+2+1], v[vgprValuC+14:vgprValuC+14+1]
v_fma_f64 v[vgprValuC+14:vgprValuC+14+1], v[10:11], s[sgprBeta+0:sgprBeta+0+1], v[vgprValuC+14:vgprValuC+14+1]
_buffer_store_b128 v[12:15], v6, s[sgprSrdD:sgprSrdD+3], 0, offen, offset:512,  nt // store D

s_waitcnt vmcnt(1)                                 // wait C (interleaved) 1 = 2 - 1 + 1 - 1
v_fma_f64 v[vgprValuC+20:vgprValuC+20+1], v[16:17], s[sgprBeta+0:sgprBeta+0+1], v[vgprValuC+20:vgprValuC+20+1]
v_fma_f64 v[vgprValuC+20:vgprValuC+20+1], v[18:19], -s[sgprBeta+2:sgprBeta+2+1], v[vgprValuC+20:vgprValuC+20+1]
v_fma_f64 v[vgprValuC+22:vgprValuC+22+1], v[16:17], s[sgprBeta+2:sgprBeta+2+1], v[vgprValuC+22:vgprValuC+22+1]
v_fma_f64 v[vgprValuC+22:vgprValuC+22+1], v[18:19], s[sgprBeta+0:sgprBeta+0+1], v[vgprValuC+22:vgprValuC+22+1]
_buffer_store_b128 v[20:23], v6, s[sgprSrdD:sgprSrdD+3], 0, offen, offset:1024,  nt // store D
s_nop 0                                            // 1 wait state required when next inst writes vgprs held by previous dwordx4 store inst
s_branch label_GW_End_44                           // jump to end
GW_B1_E1_43:

/* edge=1, allocate 6 sgpr. perBatchTmpS=4 perBatchMaskS=2 perElementMaskS=0 elementsPerBatch=2 */
/* optSingleColVgpr=0 optSharedColVgpr=0 optSGPRUsage=BufferLoad_Edge_Mask optSrdIncForRow=0 */
s_sleep 3 // optimization: sync and wait
s_barrier

/******************************************/
/* Global Write Alpha Beta Edge Batch #0 (d1,d0,vc1,vc0) = */
/*    (0,0,0,0:vw1); (0,1,0,0:vw1)        */
/******************************************/

/* calc coords, apply mask, and issue loads (if necessary) */
/* (d1,vc1,d0,vc0)=(0,0,0,0) */
v_cmp_lt_u32 s[60:61], v0, s[sgprSizeI]            // coord0 < size0
v_cmp_lt_u32 s[64:65], v1, s[sgprSizeJ]            // coord1 < size1
s_and_b64 s[64:65], s[60:61], s[64:65]             // in0 && in1
_v_add_lshl_u32 v6, v2, v0, 0x4                    // scaleToBpe: accumulate d0 lower and *= bpe into Cin addr
v_cndmask_b32 v6, -1, v6, s[64:65]                 // LDC clip if OOB. offset
_buffer_load_b128 v[8:11], v6, s[sgprSrdC:sgprSrdC+3], 0, offen offset:0,  nt // load C for beta calc
_v_add_lshl_u32 v6, v3, v0, 0x4                    // scaleToBpe: accumulate d0 lower and *= bpe into Cin addr
v_cndmask_b32 v6, -1, v6, s[64:65]                 // LDD clip if OOB. offset
/* (d1,vc1,d0,vc0)=(0,0,1,0) */
_v_add_co_u32 v4, vcc, v0, 32                      // coord0.1: coord0 += d0*sg0*VW + vc0
v_cmp_lt_u32 s[60:61], v4, s[sgprSizeI]            // coord0 < size0
v_cmp_lt_u32 s[64:65], v1, s[sgprSizeJ]            // coord1 < size1
s_and_b64 s[64:65], s[60:61], s[64:65]             // in0 && in1
_v_add_lshl_u32 v7, v2, v4, 0x4                    // scaleToBpe: accumulate d0 lower and *= bpe into Cin addr
v_cndmask_b32 v7, -1, v7, s[64:65]                 // LDC clip if OOB. offset
_buffer_load_b128 v[16:19], v7, s[sgprSrdC:sgprSrdC+3], 0, offen offset:0,  nt // load C for beta calc
_v_add_lshl_u32 v7, v3, v4, 0x4                    // scaleToBpe: accumulate d0 lower and *= bpe into Cin addr
v_cndmask_b32 v7, -1, v7, s[64:65]                 // LDD clip if OOB. offset
s_sleep 3 // optimization: sync and wait
s_barrier
v_accvgpr_read_b32 v[vgprValuC+12], acc0 // copy acc to vreg[0]
v_accvgpr_read_b32 v[vgprValuC+13], acc1 // copy acc to vreg[1]
v_accvgpr_read_b32 v[vgprValuC+14], acc96 // copy acc to vreg[2]
v_accvgpr_read_b32 v[vgprValuC+15], acc97 // copy acc to vreg[3]
v_accvgpr_read_b32 v[vgprValuC+20], acc8 // copy acc to vreg[4]
v_accvgpr_read_b32 v[vgprValuC+21], acc9 // copy acc to vreg[5]
v_accvgpr_read_b32 v[vgprValuC+22], acc104 // copy acc to vreg[6]
v_accvgpr_read_b32 v[vgprValuC+23], acc105 // copy acc to vreg[7]
s_nop 1                                            // 2 wait states required before reading vgpr

/* rC *= alpha batchElements=[(0, 0, 0, 0), (0, 1, 0, 0)] */
v_mul_f64 v[24:25], s[sgprAlpha+0:sgprAlpha+0+1], v[vgprValuC+12:vgprValuC+12+1] // 
v_mul_f64 v[26:27], s[sgprAlpha+2:sgprAlpha+2+1], v[vgprValuC+12:vgprValuC+12+1] // 
v_fma_f64 v[vgprValuC+12:vgprValuC+12+1], s[sgprAlpha+2:sgprAlpha+2+1], -v[vgprValuC+14:vgprValuC+14+1], v[24:25]
v_fma_f64 v[vgprValuC+14:vgprValuC+14+1], s[sgprAlpha+0:sgprAlpha+0+1], v[vgprValuC+14:vgprValuC+14+1], v[26:27]
v_mul_f64 v[24:25], s[sgprAlpha+0:sgprAlpha+0+1], v[vgprValuC+20:vgprValuC+20+1] // 
v_mul_f64 v[26:27], s[sgprAlpha+2:sgprAlpha+2+1], v[vgprValuC+20:vgprValuC+20+1] // 
v_fma_f64 v[vgprValuC+20:vgprValuC+20+1], s[sgprAlpha+2:sgprAlpha+2+1], -v[vgprValuC+22:vgprValuC+22+1], v[24:25]
v_fma_f64 v[vgprValuC+22:vgprValuC+22+1], s[sgprAlpha+0:sgprAlpha+0+1], v[vgprValuC+22:vgprValuC+22+1], v[26:27]
s_waitcnt vmcnt(0)                                 // wait C

/* apply mask, calc new C and issue writes */
v_fma_f64 v[vgprValuC+12:vgprValuC+12+1], v[8:9], s[sgprBeta+0:sgprBeta+0+1], v[vgprValuC+12:vgprValuC+12+1]
v_fma_f64 v[vgprValuC+12:vgprValuC+12+1], v[10:11], -s[sgprBeta+2:sgprBeta+2+1], v[vgprValuC+12:vgprValuC+12+1]
v_fma_f64 v[vgprValuC+14:vgprValuC+14+1], v[8:9], s[sgprBeta+2:sgprBeta+2+1], v[vgprValuC+14:vgprValuC+14+1]
v_fma_f64 v[vgprValuC+14:vgprValuC+14+1], v[10:11], s[sgprBeta+0:sgprBeta+0+1], v[vgprValuC+14:vgprValuC+14+1]
_buffer_store_b128 v[12:15], v6, s[sgprSrdD:sgprSrdD+3], 0, offen, offset:0,  nt // store D
v_fma_f64 v[vgprValuC+20:vgprValuC+20+1], v[16:17], s[sgprBeta+0:sgprBeta+0+1], v[vgprValuC+20:vgprValuC+20+1]
v_fma_f64 v[vgprValuC+20:vgprValuC+20+1], v[18:19], -s[sgprBeta+2:sgprBeta+2+1], v[vgprValuC+20:vgprValuC+20+1]
v_fma_f64 v[vgprValuC+22:vgprValuC+22+1], v[16:17], s[sgprBeta+2:sgprBeta+2+1], v[vgprValuC+22:vgprValuC+22+1]
v_fma_f64 v[vgprValuC+22:vgprValuC+22+1], v[18:19], s[sgprBeta+0:sgprBeta+0+1], v[vgprValuC+22:vgprValuC+22+1]
_buffer_store_b128 v[20:23], v7, s[sgprSrdD:sgprSrdD+3], 0, offen, offset:0,  nt // store D
s_nop 0                                            // 1 wait state required when next inst writes vgprs held by previous dwordx4 store inst
/* optSingleColVgpr=0 optSharedColVgpr=0 optSGPRUsage=BufferLoad_Edge_Mask optSrdIncForRow=0 */
s_sleep 3 // optimization: sync and wait
s_barrier

/******************************************/
/* Global Write Alpha Beta Edge Batch #1 (d1,d0,vc1,vc0) = */
/*    (0,2,0,0:vw1); (1,0,0,0:vw1)        */
/******************************************/

/* calc coords, apply mask, and issue loads (if necessary) */
/* (d1,vc1,d0,vc0)=(0,0,2,0) */
_v_add_co_u32 v4, vcc, v0, 64                      // coord0.1: coord0 += d0*sg0*VW + vc0
v_cmp_lt_u32 s[60:61], v4, s[sgprSizeI]            // coord0 < size0
v_cmp_lt_u32 s[64:65], v1, s[sgprSizeJ]            // coord1 < size1
s_and_b64 s[64:65], s[60:61], s[64:65]             // in0 && in1
_v_add_lshl_u32 v6, v2, v4, 0x4                    // scaleToBpe: accumulate d0 lower and *= bpe into Cin addr
v_cndmask_b32 v6, -1, v6, s[64:65]                 // LDC clip if OOB. offset
_buffer_load_b128 v[8:11], v6, s[sgprSrdC:sgprSrdC+3], 0, offen offset:0,  nt // load C for beta calc
_v_add_lshl_u32 v6, v3, v4, 0x4                    // scaleToBpe: accumulate d0 lower and *= bpe into Cin addr
v_cndmask_b32 v6, -1, v6, s[64:65]                 // LDD clip if OOB. offset
/* (d1,vc1,d0,vc0)=(1,0,0,0) */
_v_add_co_u32 v1, vcc, v1, 4                       // coord1.1: coord1Vgpr += d1*sg1*VW + vc1

/* Fix for UseInitialStridesCD, emitAddressSetupCode */
s_mul_i32 s60, s[sgprStrideC1J], 4                 // scale stride
_v_add_u32 v2, v2, s60                             // ROWINC- Move cinRowPtr to next row
s_mul_i32 s60, s[sgprStrideD1J], 4                 // scale stride
_v_add_u32 v3, v3, s60                             // Move coutRowPtr to next row
v_cmp_lt_u32 s[60:61], v0, s[sgprSizeI]            // coord0 < size0
v_cmp_lt_u32 s[64:65], v1, s[sgprSizeJ]            // coord1 < size1
s_and_b64 s[64:65], s[60:61], s[64:65]             // in0 && in1
_v_add_lshl_u32 v7, v2, v0, 0x4                    // scaleToBpe: accumulate d0 lower and *= bpe into Cin addr
v_cndmask_b32 v7, -1, v7, s[64:65]                 // LDC clip if OOB. offset
_buffer_load_b128 v[16:19], v7, s[sgprSrdC:sgprSrdC+3], 0, offen offset:0,  nt // load C for beta calc
_v_add_lshl_u32 v7, v3, v0, 0x4                    // scaleToBpe: accumulate d0 lower and *= bpe into Cin addr
v_cndmask_b32 v7, -1, v7, s[64:65]                 // LDD clip if OOB. offset
s_sleep 3 // optimization: sync and wait
s_barrier
v_accvgpr_read_b32 v[vgprValuC+12], acc16 // copy acc to vreg[8]
v_accvgpr_read_b32 v[vgprValuC+13], acc17 // copy acc to vreg[9]
v_accvgpr_read_b32 v[vgprValuC+14], acc112 // copy acc to vreg[10]
v_accvgpr_read_b32 v[vgprValuC+15], acc113 // copy acc to vreg[11]
v_accvgpr_read_b32 v[vgprValuC+20], acc2 // copy acc to vreg[12]
v_accvgpr_read_b32 v[vgprValuC+21], acc3 // copy acc to vreg[13]
v_accvgpr_read_b32 v[vgprValuC+22], acc98 // copy acc to vreg[14]
v_accvgpr_read_b32 v[vgprValuC+23], acc99 // copy acc to vreg[15]
s_nop 1                                            // 2 wait states required before reading vgpr

/* rC *= alpha batchElements=[(0, 2, 0, 0), (1, 0, 0, 0)] */
v_mul_f64 v[24:25], s[sgprAlpha+0:sgprAlpha+0+1], v[vgprValuC+12:vgprValuC+12+1] // 
v_mul_f64 v[26:27], s[sgprAlpha+2:sgprAlpha+2+1], v[vgprValuC+12:vgprValuC+12+1] // 
v_fma_f64 v[vgprValuC+12:vgprValuC+12+1], s[sgprAlpha+2:sgprAlpha+2+1], -v[vgprValuC+14:vgprValuC+14+1], v[24:25]
v_fma_f64 v[vgprValuC+14:vgprValuC+14+1], s[sgprAlpha+0:sgprAlpha+0+1], v[vgprValuC+14:vgprValuC+14+1], v[26:27]
v_mul_f64 v[24:25], s[sgprAlpha+0:sgprAlpha+0+1], v[vgprValuC+20:vgprValuC+20+1] // 
v_mul_f64 v[26:27], s[sgprAlpha+2:sgprAlpha+2+1], v[vgprValuC+20:vgprValuC+20+1] // 
v_fma_f64 v[vgprValuC+20:vgprValuC+20+1], s[sgprAlpha+2:sgprAlpha+2+1], -v[vgprValuC+22:vgprValuC+22+1], v[24:25]
v_fma_f64 v[vgprValuC+22:vgprValuC+22+1], s[sgprAlpha+0:sgprAlpha+0+1], v[vgprValuC+22:vgprValuC+22+1], v[26:27]
s_waitcnt vmcnt(0)                                 // wait C

/* apply mask, calc new C and issue writes */
v_fma_f64 v[vgprValuC+12:vgprValuC+12+1], v[8:9], s[sgprBeta+0:sgprBeta+0+1], v[vgprValuC+12:vgprValuC+12+1]
v_fma_f64 v[vgprValuC+12:vgprValuC+12+1], v[10:11], -s[sgprBeta+2:sgprBeta+2+1], v[vgprValuC+12:vgprValuC+12+1]
v_fma_f64 v[vgprValuC+14:vgprValuC+14+1], v[8:9], s[sgprBeta+2:sgprBeta+2+1], v[vgprValuC+14:vgprValuC+14+1]
v_fma_f64 v[vgprValuC+14:vgprValuC+14+1], v[10:11], s[sgprBeta+0:sgprBeta+0+1], v[vgprValuC+14:vgprValuC+14+1]
_buffer_store_b128 v[12:15], v6, s[sgprSrdD:sgprSrdD+3], 0, offen, offset:0,  nt // store D
v_fma_f64 v[vgprValuC+20:vgprValuC+20+1], v[16:17], s[sgprBeta+0:sgprBeta+0+1], v[vgprValuC+20:vgprValuC+20+1]
v_fma_f64 v[vgprValuC+20:vgprValuC+20+1], v[18:19], -s[sgprBeta+2:sgprBeta+2+1], v[vgprValuC+20:vgprValuC+20+1]
v_fma_f64 v[vgprValuC+22:vgprValuC+22+1], v[16:17], s[sgprBeta+2:sgprBeta+2+1], v[vgprValuC+22:vgprValuC+22+1]
v_fma_f64 v[vgprValuC+22:vgprValuC+22+1], v[18:19], s[sgprBeta+0:sgprBeta+0+1], v[vgprValuC+22:vgprValuC+22+1]
_buffer_store_b128 v[20:23], v7, s[sgprSrdD:sgprSrdD+3], 0, offen, offset:0,  nt // store D
s_nop 0                                            // 1 wait state required when next inst writes vgprs held by previous dwordx4 store inst
/* optSingleColVgpr=0 optSharedColVgpr=0 optSGPRUsage=BufferLoad_Edge_Mask optSrdIncForRow=0 */
s_sleep 3 // optimization: sync and wait
s_barrier

/******************************************/
/* Global Write Alpha Beta Edge Batch #2 (d1,d0,vc1,vc0) = */
/*    (1,1,0,0:vw1); (1,2,0,0:vw1)        */
/******************************************/

/* calc coords, apply mask, and issue loads (if necessary) */
/* (d1,vc1,d0,vc0)=(1,0,1,0) */
_v_add_co_u32 v4, vcc, v0, 32                      // coord0.1: coord0 += d0*sg0*VW + vc0
v_cmp_lt_u32 s[60:61], v4, s[sgprSizeI]            // coord0 < size0
v_cmp_lt_u32 s[64:65], v1, s[sgprSizeJ]            // coord1 < size1
s_and_b64 s[64:65], s[60:61], s[64:65]             // in0 && in1
_v_add_lshl_u32 v6, v2, v4, 0x4                    // scaleToBpe: accumulate d0 lower and *= bpe into Cin addr
v_cndmask_b32 v6, -1, v6, s[64:65]                 // LDC clip if OOB. offset
_buffer_load_b128 v[8:11], v6, s[sgprSrdC:sgprSrdC+3], 0, offen offset:0,  nt // load C for beta calc
_v_add_lshl_u32 v6, v3, v4, 0x4                    // scaleToBpe: accumulate d0 lower and *= bpe into Cin addr
v_cndmask_b32 v6, -1, v6, s[64:65]                 // LDD clip if OOB. offset
/* (d1,vc1,d0,vc0)=(1,0,2,0) */
_v_add_co_u32 v4, vcc, v0, 64                      // coord0.1: coord0 += d0*sg0*VW + vc0
v_cmp_lt_u32 s[60:61], v4, s[sgprSizeI]            // coord0 < size0
v_cmp_lt_u32 s[64:65], v1, s[sgprSizeJ]            // coord1 < size1
s_and_b64 s[64:65], s[60:61], s[64:65]             // in0 && in1
_v_add_lshl_u32 v7, v2, v4, 0x4                    // scaleToBpe: accumulate d0 lower and *= bpe into Cin addr
v_cndmask_b32 v7, -1, v7, s[64:65]                 // LDC clip if OOB. offset
_buffer_load_b128 v[16:19], v7, s[sgprSrdC:sgprSrdC+3], 0, offen offset:0,  nt // load C for beta calc
_v_add_lshl_u32 v7, v3, v4, 0x4                    // scaleToBpe: accumulate d0 lower and *= bpe into Cin addr
v_cndmask_b32 v7, -1, v7, s[64:65]                 // LDD clip if OOB. offset
s_sleep 3 // optimization: sync and wait
s_barrier
v_accvgpr_read_b32 v[vgprValuC+12], acc10 // copy acc to vreg[16]
v_accvgpr_read_b32 v[vgprValuC+13], acc11 // copy acc to vreg[17]
v_accvgpr_read_b32 v[vgprValuC+14], acc106 // copy acc to vreg[18]
v_accvgpr_read_b32 v[vgprValuC+15], acc107 // copy acc to vreg[19]
v_accvgpr_read_b32 v[vgprValuC+20], acc18 // copy acc to vreg[20]
v_accvgpr_read_b32 v[vgprValuC+21], acc19 // copy acc to vreg[21]
v_accvgpr_read_b32 v[vgprValuC+22], acc114 // copy acc to vreg[22]
v_accvgpr_read_b32 v[vgprValuC+23], acc115 // copy acc to vreg[23]
s_nop 1                                            // 2 wait states required before reading vgpr

/* rC *= alpha batchElements=[(1, 1, 0, 0), (1, 2, 0, 0)] */
v_mul_f64 v[24:25], s[sgprAlpha+0:sgprAlpha+0+1], v[vgprValuC+12:vgprValuC+12+1] // 
v_mul_f64 v[26:27], s[sgprAlpha+2:sgprAlpha+2+1], v[vgprValuC+12:vgprValuC+12+1] // 
v_fma_f64 v[vgprValuC+12:vgprValuC+12+1], s[sgprAlpha+2:sgprAlpha+2+1], -v[vgprValuC+14:vgprValuC+14+1], v[24:25]
v_fma_f64 v[vgprValuC+14:vgprValuC+14+1], s[sgprAlpha+0:sgprAlpha+0+1], v[vgprValuC+14:vgprValuC+14+1], v[26:27]
v_mul_f64 v[24:25], s[sgprAlpha+0:sgprAlpha+0+1], v[vgprValuC+20:vgprValuC+20+1] // 
v_mul_f64 v[26:27], s[sgprAlpha+2:sgprAlpha+2+1], v[vgprValuC+20:vgprValuC+20+1] // 
v_fma_f64 v[vgprValuC+20:vgprValuC+20+1], s[sgprAlpha+2:sgprAlpha+2+1], -v[vgprValuC+22:vgprValuC+22+1], v[24:25]
v_fma_f64 v[vgprValuC+22:vgprValuC+22+1], s[sgprAlpha+0:sgprAlpha+0+1], v[vgprValuC+22:vgprValuC+22+1], v[26:27]
s_waitcnt vmcnt(0)                                 // wait C

/* apply mask, calc new C and issue writes */
v_fma_f64 v[vgprValuC+12:vgprValuC+12+1], v[8:9], s[sgprBeta+0:sgprBeta+0+1], v[vgprValuC+12:vgprValuC+12+1]
v_fma_f64 v[vgprValuC+12:vgprValuC+12+1], v[10:11], -s[sgprBeta+2:sgprBeta+2+1], v[vgprValuC+12:vgprValuC+12+1]
v_fma_f64 v[vgprValuC+14:vgprValuC+14+1], v[8:9], s[sgprBeta+2:sgprBeta+2+1], v[vgprValuC+14:vgprValuC+14+1]
v_fma_f64 v[vgprValuC+14:vgprValuC+14+1], v[10:11], s[sgprBeta+0:sgprBeta+0+1], v[vgprValuC+14:vgprValuC+14+1]
_buffer_store_b128 v[12:15], v6, s[sgprSrdD:sgprSrdD+3], 0, offen, offset:0,  nt // store D
v_fma_f64 v[vgprValuC+20:vgprValuC+20+1], v[16:17], s[sgprBeta+0:sgprBeta+0+1], v[vgprValuC+20:vgprValuC+20+1]
v_fma_f64 v[vgprValuC+20:vgprValuC+20+1], v[18:19], -s[sgprBeta+2:sgprBeta+2+1], v[vgprValuC+20:vgprValuC+20+1]
v_fma_f64 v[vgprValuC+22:vgprValuC+22+1], v[16:17], s[sgprBeta+2:sgprBeta+2+1], v[vgprValuC+22:vgprValuC+22+1]
v_fma_f64 v[vgprValuC+22:vgprValuC+22+1], v[18:19], s[sgprBeta+0:sgprBeta+0+1], v[vgprValuC+22:vgprValuC+22+1]
_buffer_store_b128 v[20:23], v7, s[sgprSrdD:sgprSrdD+3], 0, offen, offset:0,  nt // store D
s_nop 0                                            // 1 wait state required when next inst writes vgprs held by previous dwordx4 store inst
/* optSingleColVgpr=0 optSharedColVgpr=0 optSGPRUsage=BufferLoad_Edge_Mask optSrdIncForRow=0 */
s_sleep 3 // optimization: sync and wait
s_barrier

/******************************************/
/* Global Write Alpha Beta Edge Batch #3 (d1,d0,vc1,vc0) = */
/*    (2,0,0,0:vw1); (2,1,0,0:vw1)        */
/******************************************/

/* calc coords, apply mask, and issue loads (if necessary) */
/* (d1,vc1,d0,vc0)=(2,0,0,0) */
_v_add_co_u32 v1, vcc, v1, 4                       // coord1.1: coord1Vgpr += d1*sg1*VW + vc1

/* Fix for UseInitialStridesCD, emitAddressSetupCode */
s_mul_i32 s60, s[sgprStrideC1J], 4                 // scale stride
_v_add_u32 v2, v2, s60                             // ROWINC- Move cinRowPtr to next row
s_mul_i32 s60, s[sgprStrideD1J], 4                 // scale stride
_v_add_u32 v3, v3, s60                             // Move coutRowPtr to next row
v_cmp_lt_u32 s[60:61], v0, s[sgprSizeI]            // coord0 < size0
v_cmp_lt_u32 s[64:65], v1, s[sgprSizeJ]            // coord1 < size1
s_and_b64 s[64:65], s[60:61], s[64:65]             // in0 && in1
_v_add_lshl_u32 v6, v2, v0, 0x4                    // scaleToBpe: accumulate d0 lower and *= bpe into Cin addr
v_cndmask_b32 v6, -1, v6, s[64:65]                 // LDC clip if OOB. offset
_buffer_load_b128 v[8:11], v6, s[sgprSrdC:sgprSrdC+3], 0, offen offset:0,  nt // load C for beta calc
_v_add_lshl_u32 v6, v3, v0, 0x4                    // scaleToBpe: accumulate d0 lower and *= bpe into Cin addr
v_cndmask_b32 v6, -1, v6, s[64:65]                 // LDD clip if OOB. offset
/* (d1,vc1,d0,vc0)=(2,0,1,0) */
_v_add_co_u32 v4, vcc, v0, 32                      // coord0.1: coord0 += d0*sg0*VW + vc0
v_cmp_lt_u32 s[60:61], v4, s[sgprSizeI]            // coord0 < size0
v_cmp_lt_u32 s[64:65], v1, s[sgprSizeJ]            // coord1 < size1
s_and_b64 s[64:65], s[60:61], s[64:65]             // in0 && in1
_v_add_lshl_u32 v7, v2, v4, 0x4                    // scaleToBpe: accumulate d0 lower and *= bpe into Cin addr
v_cndmask_b32 v7, -1, v7, s[64:65]                 // LDC clip if OOB. offset
_buffer_load_b128 v[16:19], v7, s[sgprSrdC:sgprSrdC+3], 0, offen offset:0,  nt // load C for beta calc
_v_add_lshl_u32 v7, v3, v4, 0x4                    // scaleToBpe: accumulate d0 lower and *= bpe into Cin addr
v_cndmask_b32 v7, -1, v7, s[64:65]                 // LDD clip if OOB. offset
s_sleep 3 // optimization: sync and wait
s_barrier
v_accvgpr_read_b32 v[vgprValuC+12], acc4 // copy acc to vreg[24]
v_accvgpr_read_b32 v[vgprValuC+13], acc5 // copy acc to vreg[25]
v_accvgpr_read_b32 v[vgprValuC+14], acc100 // copy acc to vreg[26]
v_accvgpr_read_b32 v[vgprValuC+15], acc101 // copy acc to vreg[27]
v_accvgpr_read_b32 v[vgprValuC+20], acc12 // copy acc to vreg[28]
v_accvgpr_read_b32 v[vgprValuC+21], acc13 // copy acc to vreg[29]
v_accvgpr_read_b32 v[vgprValuC+22], acc108 // copy acc to vreg[30]
v_accvgpr_read_b32 v[vgprValuC+23], acc109 // copy acc to vreg[31]
s_nop 1                                            // 2 wait states required before reading vgpr

/* rC *= alpha batchElements=[(2, 0, 0, 0), (2, 1, 0, 0)] */
v_mul_f64 v[24:25], s[sgprAlpha+0:sgprAlpha+0+1], v[vgprValuC+12:vgprValuC+12+1] // 
v_mul_f64 v[26:27], s[sgprAlpha+2:sgprAlpha+2+1], v[vgprValuC+12:vgprValuC+12+1] // 
v_fma_f64 v[vgprValuC+12:vgprValuC+12+1], s[sgprAlpha+2:sgprAlpha+2+1], -v[vgprValuC+14:vgprValuC+14+1], v[24:25]
v_fma_f64 v[vgprValuC+14:vgprValuC+14+1], s[sgprAlpha+0:sgprAlpha+0+1], v[vgprValuC+14:vgprValuC+14+1], v[26:27]
v_mul_f64 v[24:25], s[sgprAlpha+0:sgprAlpha+0+1], v[vgprValuC+20:vgprValuC+20+1] // 
v_mul_f64 v[26:27], s[sgprAlpha+2:sgprAlpha+2+1], v[vgprValuC+20:vgprValuC+20+1] // 
v_fma_f64 v[vgprValuC+20:vgprValuC+20+1], s[sgprAlpha+2:sgprAlpha+2+1], -v[vgprValuC+22:vgprValuC+22+1], v[24:25]
v_fma_f64 v[vgprValuC+22:vgprValuC+22+1], s[sgprAlpha+0:sgprAlpha+0+1], v[vgprValuC+22:vgprValuC+22+1], v[26:27]
s_waitcnt vmcnt(0)                                 // wait C

/* apply mask, calc new C and issue writes */
v_fma_f64 v[vgprValuC+12:vgprValuC+12+1], v[8:9], s[sgprBeta+0:sgprBeta+0+1], v[vgprValuC+12:vgprValuC+12+1]
v_fma_f64 v[vgprValuC+12:vgprValuC+12+1], v[10:11], -s[sgprBeta+2:sgprBeta+2+1], v[vgprValuC+12:vgprValuC+12+1]
v_fma_f64 v[vgprValuC+14:vgprValuC+14+1], v[8:9], s[sgprBeta+2:sgprBeta+2+1], v[vgprValuC+14:vgprValuC+14+1]
v_fma_f64 v[vgprValuC+14:vgprValuC+14+1], v[10:11], s[sgprBeta+0:sgprBeta+0+1], v[vgprValuC+14:vgprValuC+14+1]
_buffer_store_b128 v[12:15], v6, s[sgprSrdD:sgprSrdD+3], 0, offen, offset:0,  nt // store D
v_fma_f64 v[vgprValuC+20:vgprValuC+20+1], v[16:17], s[sgprBeta+0:sgprBeta+0+1], v[vgprValuC+20:vgprValuC+20+1]
v_fma_f64 v[vgprValuC+20:vgprValuC+20+1], v[18:19], -s[sgprBeta+2:sgprBeta+2+1], v[vgprValuC+20:vgprValuC+20+1]
v_fma_f64 v[vgprValuC+22:vgprValuC+22+1], v[16:17], s[sgprBeta+2:sgprBeta+2+1], v[vgprValuC+22:vgprValuC+22+1]
v_fma_f64 v[vgprValuC+22:vgprValuC+22+1], v[18:19], s[sgprBeta+0:sgprBeta+0+1], v[vgprValuC+22:vgprValuC+22+1]
_buffer_store_b128 v[20:23], v7, s[sgprSrdD:sgprSrdD+3], 0, offen, offset:0,  nt // store D
s_nop 0                                            // 1 wait state required when next inst writes vgprs held by previous dwordx4 store inst
/* optSingleColVgpr=0 optSharedColVgpr=0 optSGPRUsage=BufferLoad_Edge_Mask optSrdIncForRow=0 */
s_sleep 3 // optimization: sync and wait
s_barrier

/******************************************/
/* Global Write Alpha Beta Edge Batch #4 (d1,d0,vc1,vc0) = */
/*    (2,2,0,0:vw1); (3,0,0,0:vw1)        */
/******************************************/

/* calc coords, apply mask, and issue loads (if necessary) */
/* (d1,vc1,d0,vc0)=(2,0,2,0) */
_v_add_co_u32 v4, vcc, v0, 64                      // coord0.1: coord0 += d0*sg0*VW + vc0
v_cmp_lt_u32 s[60:61], v4, s[sgprSizeI]            // coord0 < size0
v_cmp_lt_u32 s[64:65], v1, s[sgprSizeJ]            // coord1 < size1
s_and_b64 s[64:65], s[60:61], s[64:65]             // in0 && in1
_v_add_lshl_u32 v6, v2, v4, 0x4                    // scaleToBpe: accumulate d0 lower and *= bpe into Cin addr
v_cndmask_b32 v6, -1, v6, s[64:65]                 // LDC clip if OOB. offset
_buffer_load_b128 v[8:11], v6, s[sgprSrdC:sgprSrdC+3], 0, offen offset:0,  nt // load C for beta calc
_v_add_lshl_u32 v6, v3, v4, 0x4                    // scaleToBpe: accumulate d0 lower and *= bpe into Cin addr
v_cndmask_b32 v6, -1, v6, s[64:65]                 // LDD clip if OOB. offset
/* (d1,vc1,d0,vc0)=(3,0,0,0) */
_v_add_co_u32 v1, vcc, v1, 4                       // coord1.1: coord1Vgpr += d1*sg1*VW + vc1

/* Fix for UseInitialStridesCD, emitAddressSetupCode */
s_mul_i32 s60, s[sgprStrideC1J], 4                 // scale stride
_v_add_u32 v2, v2, s60                             // ROWINC- Move cinRowPtr to next row
s_mul_i32 s60, s[sgprStrideD1J], 4                 // scale stride
_v_add_u32 v3, v3, s60                             // Move coutRowPtr to next row
v_cmp_lt_u32 s[60:61], v0, s[sgprSizeI]            // coord0 < size0
v_cmp_lt_u32 s[64:65], v1, s[sgprSizeJ]            // coord1 < size1
s_and_b64 s[64:65], s[60:61], s[64:65]             // in0 && in1
_v_add_lshl_u32 v7, v2, v0, 0x4                    // scaleToBpe: accumulate d0 lower and *= bpe into Cin addr
v_cndmask_b32 v7, -1, v7, s[64:65]                 // LDC clip if OOB. offset
_buffer_load_b128 v[16:19], v7, s[sgprSrdC:sgprSrdC+3], 0, offen offset:0,  nt // load C for beta calc
_v_add_lshl_u32 v7, v3, v0, 0x4                    // scaleToBpe: accumulate d0 lower and *= bpe into Cin addr
v_cndmask_b32 v7, -1, v7, s[64:65]                 // LDD clip if OOB. offset
s_sleep 3 // optimization: sync and wait
s_barrier
v_accvgpr_read_b32 v[vgprValuC+12], acc20 // copy acc to vreg[32]
v_accvgpr_read_b32 v[vgprValuC+13], acc21 // copy acc to vreg[33]
v_accvgpr_read_b32 v[vgprValuC+14], acc116 // copy acc to vreg[34]
v_accvgpr_read_b32 v[vgprValuC+15], acc117 // copy acc to vreg[35]
v_accvgpr_read_b32 v[vgprValuC+20], acc6 // copy acc to vreg[36]
v_accvgpr_read_b32 v[vgprValuC+21], acc7 // copy acc to vreg[37]
v_accvgpr_read_b32 v[vgprValuC+22], acc102 // copy acc to vreg[38]
v_accvgpr_read_b32 v[vgprValuC+23], acc103 // copy acc to vreg[39]
s_nop 1                                            // 2 wait states required before reading vgpr

/* rC *= alpha batchElements=[(2, 2, 0, 0), (3, 0, 0, 0)] */
v_mul_f64 v[24:25], s[sgprAlpha+0:sgprAlpha+0+1], v[vgprValuC+12:vgprValuC+12+1] // 
v_mul_f64 v[26:27], s[sgprAlpha+2:sgprAlpha+2+1], v[vgprValuC+12:vgprValuC+12+1] // 
v_fma_f64 v[vgprValuC+12:vgprValuC+12+1], s[sgprAlpha+2:sgprAlpha+2+1], -v[vgprValuC+14:vgprValuC+14+1], v[24:25]
v_fma_f64 v[vgprValuC+14:vgprValuC+14+1], s[sgprAlpha+0:sgprAlpha+0+1], v[vgprValuC+14:vgprValuC+14+1], v[26:27]
v_mul_f64 v[24:25], s[sgprAlpha+0:sgprAlpha+0+1], v[vgprValuC+20:vgprValuC+20+1] // 
v_mul_f64 v[26:27], s[sgprAlpha+2:sgprAlpha+2+1], v[vgprValuC+20:vgprValuC+20+1] // 
v_fma_f64 v[vgprValuC+20:vgprValuC+20+1], s[sgprAlpha+2:sgprAlpha+2+1], -v[vgprValuC+22:vgprValuC+22+1], v[24:25]
v_fma_f64 v[vgprValuC+22:vgprValuC+22+1], s[sgprAlpha+0:sgprAlpha+0+1], v[vgprValuC+22:vgprValuC+22+1], v[26:27]
s_waitcnt vmcnt(0)                                 // wait C

/* apply mask, calc new C and issue writes */
v_fma_f64 v[vgprValuC+12:vgprValuC+12+1], v[8:9], s[sgprBeta+0:sgprBeta+0+1], v[vgprValuC+12:vgprValuC+12+1]
v_fma_f64 v[vgprValuC+12:vgprValuC+12+1], v[10:11], -s[sgprBeta+2:sgprBeta+2+1], v[vgprValuC+12:vgprValuC+12+1]
v_fma_f64 v[vgprValuC+14:vgprValuC+14+1], v[8:9], s[sgprBeta+2:sgprBeta+2+1], v[vgprValuC+14:vgprValuC+14+1]
v_fma_f64 v[vgprValuC+14:vgprValuC+14+1], v[10:11], s[sgprBeta+0:sgprBeta+0+1], v[vgprValuC+14:vgprValuC+14+1]
_buffer_store_b128 v[12:15], v6, s[sgprSrdD:sgprSrdD+3], 0, offen, offset:0,  nt // store D
v_fma_f64 v[vgprValuC+20:vgprValuC+20+1], v[16:17], s[sgprBeta+0:sgprBeta+0+1], v[vgprValuC+20:vgprValuC+20+1]
v_fma_f64 v[vgprValuC+20:vgprValuC+20+1], v[18:19], -s[sgprBeta+2:sgprBeta+2+1], v[vgprValuC+20:vgprValuC+20+1]
v_fma_f64 v[vgprValuC+22:vgprValuC+22+1], v[16:17], s[sgprBeta+2:sgprBeta+2+1], v[vgprValuC+22:vgprValuC+22+1]
v_fma_f64 v[vgprValuC+22:vgprValuC+22+1], v[18:19], s[sgprBeta+0:sgprBeta+0+1], v[vgprValuC+22:vgprValuC+22+1]
_buffer_store_b128 v[20:23], v7, s[sgprSrdD:sgprSrdD+3], 0, offen, offset:0,  nt // store D
s_nop 0                                            // 1 wait state required when next inst writes vgprs held by previous dwordx4 store inst
/* optSingleColVgpr=0 optSharedColVgpr=0 optSGPRUsage=BufferLoad_Edge_Mask optSrdIncForRow=0 */
s_sleep 3 // optimization: sync and wait
s_barrier

/******************************************/
/* Global Write Alpha Beta Edge Batch #5 (d1,d0,vc1,vc0) = */
/*    (3,1,0,0:vw1); (3,2,0,0:vw1)        */
/******************************************/

/* calc coords, apply mask, and issue loads (if necessary) */
/* (d1,vc1,d0,vc0)=(3,0,1,0) */
_v_add_co_u32 v4, vcc, v0, 32                      // coord0.1: coord0 += d0*sg0*VW + vc0
v_cmp_lt_u32 s[60:61], v4, s[sgprSizeI]            // coord0 < size0
v_cmp_lt_u32 s[64:65], v1, s[sgprSizeJ]            // coord1 < size1
s_and_b64 s[64:65], s[60:61], s[64:65]             // in0 && in1
_v_add_lshl_u32 v6, v2, v4, 0x4                    // scaleToBpe: accumulate d0 lower and *= bpe into Cin addr
v_cndmask_b32 v6, -1, v6, s[64:65]                 // LDC clip if OOB. offset
_buffer_load_b128 v[8:11], v6, s[sgprSrdC:sgprSrdC+3], 0, offen offset:0,  nt // load C for beta calc
_v_add_lshl_u32 v6, v3, v4, 0x4                    // scaleToBpe: accumulate d0 lower and *= bpe into Cin addr
v_cndmask_b32 v6, -1, v6, s[64:65]                 // LDD clip if OOB. offset
/* (d1,vc1,d0,vc0)=(3,0,2,0) */
_v_add_co_u32 v4, vcc, v0, 64                      // coord0.1: coord0 += d0*sg0*VW + vc0
v_cmp_lt_u32 s[60:61], v4, s[sgprSizeI]            // coord0 < size0
v_cmp_lt_u32 s[64:65], v1, s[sgprSizeJ]            // coord1 < size1
s_and_b64 s[64:65], s[60:61], s[64:65]             // in0 && in1
_v_add_lshl_u32 v7, v2, v4, 0x4                    // scaleToBpe: accumulate d0 lower and *= bpe into Cin addr
v_cndmask_b32 v7, -1, v7, s[64:65]                 // LDC clip if OOB. offset
_buffer_load_b128 v[16:19], v7, s[sgprSrdC:sgprSrdC+3], 0, offen offset:0,  nt // load C for beta calc
_v_add_lshl_u32 v7, v3, v4, 0x4                    // scaleToBpe: accumulate d0 lower and *= bpe into Cin addr
v_cndmask_b32 v7, -1, v7, s[64:65]                 // LDD clip if OOB. offset
s_sleep 3 // optimization: sync and wait
s_barrier
v_accvgpr_read_b32 v[vgprValuC+12], acc14 // copy acc to vreg[40]
v_accvgpr_read_b32 v[vgprValuC+13], acc15 // copy acc to vreg[41]
v_accvgpr_read_b32 v[vgprValuC+14], acc110 // copy acc to vreg[42]
v_accvgpr_read_b32 v[vgprValuC+15], acc111 // copy acc to vreg[43]
v_accvgpr_read_b32 v[vgprValuC+20], acc22 // copy acc to vreg[44]
v_accvgpr_read_b32 v[vgprValuC+21], acc23 // copy acc to vreg[45]
v_accvgpr_read_b32 v[vgprValuC+22], acc118 // copy acc to vreg[46]
v_accvgpr_read_b32 v[vgprValuC+23], acc119 // copy acc to vreg[47]
s_nop 1                                            // 2 wait states required before reading vgpr

/* rC *= alpha batchElements=[(3, 1, 0, 0), (3, 2, 0, 0)] */
v_mul_f64 v[24:25], s[sgprAlpha+0:sgprAlpha+0+1], v[vgprValuC+12:vgprValuC+12+1] // 
v_mul_f64 v[26:27], s[sgprAlpha+2:sgprAlpha+2+1], v[vgprValuC+12:vgprValuC+12+1] // 
v_fma_f64 v[vgprValuC+12:vgprValuC+12+1], s[sgprAlpha+2:sgprAlpha+2+1], -v[vgprValuC+14:vgprValuC+14+1], v[24:25]
v_fma_f64 v[vgprValuC+14:vgprValuC+14+1], s[sgprAlpha+0:sgprAlpha+0+1], v[vgprValuC+14:vgprValuC+14+1], v[26:27]
v_mul_f64 v[24:25], s[sgprAlpha+0:sgprAlpha+0+1], v[vgprValuC+20:vgprValuC+20+1] // 
v_mul_f64 v[26:27], s[sgprAlpha+2:sgprAlpha+2+1], v[vgprValuC+20:vgprValuC+20+1] // 
v_fma_f64 v[vgprValuC+20:vgprValuC+20+1], s[sgprAlpha+2:sgprAlpha+2+1], -v[vgprValuC+22:vgprValuC+22+1], v[24:25]
v_fma_f64 v[vgprValuC+22:vgprValuC+22+1], s[sgprAlpha+0:sgprAlpha+0+1], v[vgprValuC+22:vgprValuC+22+1], v[26:27]
s_waitcnt vmcnt(0)                                 // wait C

/* apply mask, calc new C and issue writes */
v_fma_f64 v[vgprValuC+12:vgprValuC+12+1], v[8:9], s[sgprBeta+0:sgprBeta+0+1], v[vgprValuC+12:vgprValuC+12+1]
v_fma_f64 v[vgprValuC+12:vgprValuC+12+1], v[10:11], -s[sgprBeta+2:sgprBeta+2+1], v[vgprValuC+12:vgprValuC+12+1]
v_fma_f64 v[vgprValuC+14:vgprValuC+14+1], v[8:9], s[sgprBeta+2:sgprBeta+2+1], v[vgprValuC+14:vgprValuC+14+1]
v_fma_f64 v[vgprValuC+14:vgprValuC+14+1], v[10:11], s[sgprBeta+0:sgprBeta+0+1], v[vgprValuC+14:vgprValuC+14+1]
_buffer_store_b128 v[12:15], v6, s[sgprSrdD:sgprSrdD+3], 0, offen, offset:0,  nt // store D
v_fma_f64 v[vgprValuC+20:vgprValuC+20+1], v[16:17], s[sgprBeta+0:sgprBeta+0+1], v[vgprValuC+20:vgprValuC+20+1]
v_fma_f64 v[vgprValuC+20:vgprValuC+20+1], v[18:19], -s[sgprBeta+2:sgprBeta+2+1], v[vgprValuC+20:vgprValuC+20+1]
v_fma_f64 v[vgprValuC+22:vgprValuC+22+1], v[16:17], s[sgprBeta+2:sgprBeta+2+1], v[vgprValuC+22:vgprValuC+22+1]
v_fma_f64 v[vgprValuC+22:vgprValuC+22+1], v[18:19], s[sgprBeta+0:sgprBeta+0+1], v[vgprValuC+22:vgprValuC+22+1]
_buffer_store_b128 v[20:23], v7, s[sgprSrdD:sgprSrdD+3], 0, offen, offset:0,  nt // store D
s_nop 0                                            // 1 wait state required when next inst writes vgprs held by previous dwordx4 store inst
/* optSingleColVgpr=0 optSharedColVgpr=0 optSGPRUsage=BufferLoad_Edge_Mask optSrdIncForRow=0 */
s_sleep 3 // optimization: sync and wait
s_barrier

/******************************************/
/* Global Write Alpha Beta Edge Batch #6 (d1,d0,vc1,vc0) = */
/*    (4,0,0,0:vw1); (4,1,0,0:vw1)        */
/******************************************/

/* calc coords, apply mask, and issue loads (if necessary) */
/* (d1,vc1,d0,vc0)=(4,0,0,0) */
_v_add_co_u32 v1, vcc, v1, 20                      // coord1.1: coord1Vgpr += d1*sg1*VW + vc1

/* Fix for UseInitialStridesCD, emitAddressSetupCode */
s_mul_i32 s60, s[sgprStrideC1J], 20                // scale stride
_v_add_u32 v2, v2, s60                             // ROWINC- Move cinRowPtr to next row
s_mul_i32 s60, s[sgprStrideD1J], 20                // scale stride
_v_add_u32 v3, v3, s60                             // Move coutRowPtr to next row
v_cmp_lt_u32 s[60:61], v0, s[sgprSizeI]            // coord0 < size0
v_cmp_lt_u32 s[64:65], v1, s[sgprSizeJ]            // coord1 < size1
s_and_b64 s[64:65], s[60:61], s[64:65]             // in0 && in1
_v_add_lshl_u32 v6, v2, v0, 0x4                    // scaleToBpe: accumulate d0 lower and *= bpe into Cin addr
v_cndmask_b32 v6, -1, v6, s[64:65]                 // LDC clip if OOB. offset
_buffer_load_b128 v[8:11], v6, s[sgprSrdC:sgprSrdC+3], 0, offen offset:0,  nt // load C for beta calc
_v_add_lshl_u32 v6, v3, v0, 0x4                    // scaleToBpe: accumulate d0 lower and *= bpe into Cin addr
v_cndmask_b32 v6, -1, v6, s[64:65]                 // LDD clip if OOB. offset
/* (d1,vc1,d0,vc0)=(4,0,1,0) */
_v_add_co_u32 v4, vcc, v0, 32                      // coord0.1: coord0 += d0*sg0*VW + vc0
v_cmp_lt_u32 s[60:61], v4, s[sgprSizeI]            // coord0 < size0
v_cmp_lt_u32 s[64:65], v1, s[sgprSizeJ]            // coord1 < size1
s_and_b64 s[64:65], s[60:61], s[64:65]             // in0 && in1
_v_add_lshl_u32 v7, v2, v4, 0x4                    // scaleToBpe: accumulate d0 lower and *= bpe into Cin addr
v_cndmask_b32 v7, -1, v7, s[64:65]                 // LDC clip if OOB. offset
_buffer_load_b128 v[16:19], v7, s[sgprSrdC:sgprSrdC+3], 0, offen offset:0,  nt // load C for beta calc
_v_add_lshl_u32 v7, v3, v4, 0x4                    // scaleToBpe: accumulate d0 lower and *= bpe into Cin addr
v_cndmask_b32 v7, -1, v7, s[64:65]                 // LDD clip if OOB. offset
s_sleep 3 // optimization: sync and wait
s_barrier
v_accvgpr_read_b32 v[vgprValuC+12], acc24 // copy acc to vreg[48]
v_accvgpr_read_b32 v[vgprValuC+13], acc25 // copy acc to vreg[49]
v_accvgpr_read_b32 v[vgprValuC+14], acc120 // copy acc to vreg[50]
v_accvgpr_read_b32 v[vgprValuC+15], acc121 // copy acc to vreg[51]
v_accvgpr_read_b32 v[vgprValuC+20], acc32 // copy acc to vreg[52]
v_accvgpr_read_b32 v[vgprValuC+21], acc33 // copy acc to vreg[53]
v_accvgpr_read_b32 v[vgprValuC+22], acc128 // copy acc to vreg[54]
v_accvgpr_read_b32 v[vgprValuC+23], acc129 // copy acc to vreg[55]
s_nop 1                                            // 2 wait states required before reading vgpr

/* rC *= alpha batchElements=[(4, 0, 0, 0), (4, 1, 0, 0)] */
v_mul_f64 v[24:25], s[sgprAlpha+0:sgprAlpha+0+1], v[vgprValuC+12:vgprValuC+12+1] // 
v_mul_f64 v[26:27], s[sgprAlpha+2:sgprAlpha+2+1], v[vgprValuC+12:vgprValuC+12+1] // 
v_fma_f64 v[vgprValuC+12:vgprValuC+12+1], s[sgprAlpha+2:sgprAlpha+2+1], -v[vgprValuC+14:vgprValuC+14+1], v[24:25]
v_fma_f64 v[vgprValuC+14:vgprValuC+14+1], s[sgprAlpha+0:sgprAlpha+0+1], v[vgprValuC+14:vgprValuC+14+1], v[26:27]
v_mul_f64 v[24:25], s[sgprAlpha+0:sgprAlpha+0+1], v[vgprValuC+20:vgprValuC+20+1] // 
v_mul_f64 v[26:27], s[sgprAlpha+2:sgprAlpha+2+1], v[vgprValuC+20:vgprValuC+20+1] // 
v_fma_f64 v[vgprValuC+20:vgprValuC+20+1], s[sgprAlpha+2:sgprAlpha+2+1], -v[vgprValuC+22:vgprValuC+22+1], v[24:25]
v_fma_f64 v[vgprValuC+22:vgprValuC+22+1], s[sgprAlpha+0:sgprAlpha+0+1], v[vgprValuC+22:vgprValuC+22+1], v[26:27]
s_waitcnt vmcnt(0)                                 // wait C

/* apply mask, calc new C and issue writes */
v_fma_f64 v[vgprValuC+12:vgprValuC+12+1], v[8:9], s[sgprBeta+0:sgprBeta+0+1], v[vgprValuC+12:vgprValuC+12+1]
v_fma_f64 v[vgprValuC+12:vgprValuC+12+1], v[10:11], -s[sgprBeta+2:sgprBeta+2+1], v[vgprValuC+12:vgprValuC+12+1]
v_fma_f64 v[vgprValuC+14:vgprValuC+14+1], v[8:9], s[sgprBeta+2:sgprBeta+2+1], v[vgprValuC+14:vgprValuC+14+1]
v_fma_f64 v[vgprValuC+14:vgprValuC+14+1], v[10:11], s[sgprBeta+0:sgprBeta+0+1], v[vgprValuC+14:vgprValuC+14+1]
_buffer_store_b128 v[12:15], v6, s[sgprSrdD:sgprSrdD+3], 0, offen, offset:0,  nt // store D
v_fma_f64 v[vgprValuC+20:vgprValuC+20+1], v[16:17], s[sgprBeta+0:sgprBeta+0+1], v[vgprValuC+20:vgprValuC+20+1]
v_fma_f64 v[vgprValuC+20:vgprValuC+20+1], v[18:19], -s[sgprBeta+2:sgprBeta+2+1], v[vgprValuC+20:vgprValuC+20+1]
v_fma_f64 v[vgprValuC+22:vgprValuC+22+1], v[16:17], s[sgprBeta+2:sgprBeta+2+1], v[vgprValuC+22:vgprValuC+22+1]
v_fma_f64 v[vgprValuC+22:vgprValuC+22+1], v[18:19], s[sgprBeta+0:sgprBeta+0+1], v[vgprValuC+22:vgprValuC+22+1]
_buffer_store_b128 v[20:23], v7, s[sgprSrdD:sgprSrdD+3], 0, offen, offset:0,  nt // store D
s_nop 0                                            // 1 wait state required when next inst writes vgprs held by previous dwordx4 store inst
/* optSingleColVgpr=0 optSharedColVgpr=0 optSGPRUsage=BufferLoad_Edge_Mask optSrdIncForRow=0 */
s_sleep 3 // optimization: sync and wait
s_barrier

/******************************************/
/* Global Write Alpha Beta Edge Batch #7 (d1,d0,vc1,vc0) = */
/*    (4,2,0,0:vw1); (5,0,0,0:vw1)        */
/******************************************/

/* calc coords, apply mask, and issue loads (if necessary) */
/* (d1,vc1,d0,vc0)=(4,0,2,0) */
_v_add_co_u32 v4, vcc, v0, 64                      // coord0.1: coord0 += d0*sg0*VW + vc0
v_cmp_lt_u32 s[60:61], v4, s[sgprSizeI]            // coord0 < size0
v_cmp_lt_u32 s[64:65], v1, s[sgprSizeJ]            // coord1 < size1
s_and_b64 s[64:65], s[60:61], s[64:65]             // in0 && in1
_v_add_lshl_u32 v6, v2, v4, 0x4                    // scaleToBpe: accumulate d0 lower and *= bpe into Cin addr
v_cndmask_b32 v6, -1, v6, s[64:65]                 // LDC clip if OOB. offset
_buffer_load_b128 v[8:11], v6, s[sgprSrdC:sgprSrdC+3], 0, offen offset:0,  nt // load C for beta calc
_v_add_lshl_u32 v6, v3, v4, 0x4                    // scaleToBpe: accumulate d0 lower and *= bpe into Cin addr
v_cndmask_b32 v6, -1, v6, s[64:65]                 // LDD clip if OOB. offset
/* (d1,vc1,d0,vc0)=(5,0,0,0) */
_v_add_co_u32 v1, vcc, v1, 4                       // coord1.1: coord1Vgpr += d1*sg1*VW + vc1

/* Fix for UseInitialStridesCD, emitAddressSetupCode */
s_mul_i32 s60, s[sgprStrideC1J], 4                 // scale stride
_v_add_u32 v2, v2, s60                             // ROWINC- Move cinRowPtr to next row
s_mul_i32 s60, s[sgprStrideD1J], 4                 // scale stride
_v_add_u32 v3, v3, s60                             // Move coutRowPtr to next row
v_cmp_lt_u32 s[60:61], v0, s[sgprSizeI]            // coord0 < size0
v_cmp_lt_u32 s[64:65], v1, s[sgprSizeJ]            // coord1 < size1
s_and_b64 s[64:65], s[60:61], s[64:65]             // in0 && in1
_v_add_lshl_u32 v7, v2, v0, 0x4                    // scaleToBpe: accumulate d0 lower and *= bpe into Cin addr
v_cndmask_b32 v7, -1, v7, s[64:65]                 // LDC clip if OOB. offset
_buffer_load_b128 v[16:19], v7, s[sgprSrdC:sgprSrdC+3], 0, offen offset:0,  nt // load C for beta calc
_v_add_lshl_u32 v7, v3, v0, 0x4                    // scaleToBpe: accumulate d0 lower and *= bpe into Cin addr
v_cndmask_b32 v7, -1, v7, s[64:65]                 // LDD clip if OOB. offset
s_sleep 3 // optimization: sync and wait
s_barrier
v_accvgpr_read_b32 v[vgprValuC+12], acc40 // copy acc to vreg[56]
v_accvgpr_read_b32 v[vgprValuC+13], acc41 // copy acc to vreg[57]
v_accvgpr_read_b32 v[vgprValuC+14], acc136 // copy acc to vreg[58]
v_accvgpr_read_b32 v[vgprValuC+15], acc137 // copy acc to vreg[59]
v_accvgpr_read_b32 v[vgprValuC+20], acc26 // copy acc to vreg[60]
v_accvgpr_read_b32 v[vgprValuC+21], acc27 // copy acc to vreg[61]
v_accvgpr_read_b32 v[vgprValuC+22], acc122 // copy acc to vreg[62]
v_accvgpr_read_b32 v[vgprValuC+23], acc123 // copy acc to vreg[63]
s_nop 1                                            // 2 wait states required before reading vgpr

/* rC *= alpha batchElements=[(4, 2, 0, 0), (5, 0, 0, 0)] */
v_mul_f64 v[24:25], s[sgprAlpha+0:sgprAlpha+0+1], v[vgprValuC+12:vgprValuC+12+1] // 
v_mul_f64 v[26:27], s[sgprAlpha+2:sgprAlpha+2+1], v[vgprValuC+12:vgprValuC+12+1] // 
v_fma_f64 v[vgprValuC+12:vgprValuC+12+1], s[sgprAlpha+2:sgprAlpha+2+1], -v[vgprValuC+14:vgprValuC+14+1], v[24:25]
v_fma_f64 v[vgprValuC+14:vgprValuC+14+1], s[sgprAlpha+0:sgprAlpha+0+1], v[vgprValuC+14:vgprValuC+14+1], v[26:27]
v_mul_f64 v[24:25], s[sgprAlpha+0:sgprAlpha+0+1], v[vgprValuC+20:vgprValuC+20+1] // 
v_mul_f64 v[26:27], s[sgprAlpha+2:sgprAlpha+2+1], v[vgprValuC+20:vgprValuC+20+1] // 
v_fma_f64 v[vgprValuC+20:vgprValuC+20+1], s[sgprAlpha+2:sgprAlpha+2+1], -v[vgprValuC+22:vgprValuC+22+1], v[24:25]
v_fma_f64 v[vgprValuC+22:vgprValuC+22+1], s[sgprAlpha+0:sgprAlpha+0+1], v[vgprValuC+22:vgprValuC+22+1], v[26:27]
s_waitcnt vmcnt(0)                                 // wait C

/* apply mask, calc new C and issue writes */
v_fma_f64 v[vgprValuC+12:vgprValuC+12+1], v[8:9], s[sgprBeta+0:sgprBeta+0+1], v[vgprValuC+12:vgprValuC+12+1]
v_fma_f64 v[vgprValuC+12:vgprValuC+12+1], v[10:11], -s[sgprBeta+2:sgprBeta+2+1], v[vgprValuC+12:vgprValuC+12+1]
v_fma_f64 v[vgprValuC+14:vgprValuC+14+1], v[8:9], s[sgprBeta+2:sgprBeta+2+1], v[vgprValuC+14:vgprValuC+14+1]
v_fma_f64 v[vgprValuC+14:vgprValuC+14+1], v[10:11], s[sgprBeta+0:sgprBeta+0+1], v[vgprValuC+14:vgprValuC+14+1]
_buffer_store_b128 v[12:15], v6, s[sgprSrdD:sgprSrdD+3], 0, offen, offset:0,  nt // store D
v_fma_f64 v[vgprValuC+20:vgprValuC+20+1], v[16:17], s[sgprBeta+0:sgprBeta+0+1], v[vgprValuC+20:vgprValuC+20+1]
v_fma_f64 v[vgprValuC+20:vgprValuC+20+1], v[18:19], -s[sgprBeta+2:sgprBeta+2+1], v[vgprValuC+20:vgprValuC+20+1]
v_fma_f64 v[vgprValuC+22:vgprValuC+22+1], v[16:17], s[sgprBeta+2:sgprBeta+2+1], v[vgprValuC+22:vgprValuC+22+1]
v_fma_f64 v[vgprValuC+22:vgprValuC+22+1], v[18:19], s[sgprBeta+0:sgprBeta+0+1], v[vgprValuC+22:vgprValuC+22+1]
_buffer_store_b128 v[20:23], v7, s[sgprSrdD:sgprSrdD+3], 0, offen, offset:0,  nt // store D
s_nop 0                                            // 1 wait state required when next inst writes vgprs held by previous dwordx4 store inst
/* optSingleColVgpr=0 optSharedColVgpr=0 optSGPRUsage=BufferLoad_Edge_Mask optSrdIncForRow=0 */
s_sleep 3 // optimization: sync and wait
s_barrier

/******************************************/
/* Global Write Alpha Beta Edge Batch #8 (d1,d0,vc1,vc0) = */
/*    (5,1,0,0:vw1); (5,2,0,0:vw1)        */
/******************************************/

/* calc coords, apply mask, and issue loads (if necessary) */
/* (d1,vc1,d0,vc0)=(5,0,1,0) */
_v_add_co_u32 v4, vcc, v0, 32                      // coord0.1: coord0 += d0*sg0*VW + vc0
v_cmp_lt_u32 s[60:61], v4, s[sgprSizeI]            // coord0 < size0
v_cmp_lt_u32 s[64:65], v1, s[sgprSizeJ]            // coord1 < size1
s_and_b64 s[64:65], s[60:61], s[64:65]             // in0 && in1
_v_add_lshl_u32 v6, v2, v4, 0x4                    // scaleToBpe: accumulate d0 lower and *= bpe into Cin addr
v_cndmask_b32 v6, -1, v6, s[64:65]                 // LDC clip if OOB. offset
_buffer_load_b128 v[8:11], v6, s[sgprSrdC:sgprSrdC+3], 0, offen offset:0,  nt // load C for beta calc
_v_add_lshl_u32 v6, v3, v4, 0x4                    // scaleToBpe: accumulate d0 lower and *= bpe into Cin addr
v_cndmask_b32 v6, -1, v6, s[64:65]                 // LDD clip if OOB. offset
/* (d1,vc1,d0,vc0)=(5,0,2,0) */
_v_add_co_u32 v4, vcc, v0, 64                      // coord0.1: coord0 += d0*sg0*VW + vc0
v_cmp_lt_u32 s[60:61], v4, s[sgprSizeI]            // coord0 < size0
v_cmp_lt_u32 s[64:65], v1, s[sgprSizeJ]            // coord1 < size1
s_and_b64 s[64:65], s[60:61], s[64:65]             // in0 && in1
_v_add_lshl_u32 v7, v2, v4, 0x4                    // scaleToBpe: accumulate d0 lower and *= bpe into Cin addr
v_cndmask_b32 v7, -1, v7, s[64:65]                 // LDC clip if OOB. offset
_buffer_load_b128 v[16:19], v7, s[sgprSrdC:sgprSrdC+3], 0, offen offset:0,  nt // load C for beta calc
_v_add_lshl_u32 v7, v3, v4, 0x4                    // scaleToBpe: accumulate d0 lower and *= bpe into Cin addr
v_cndmask_b32 v7, -1, v7, s[64:65]                 // LDD clip if OOB. offset
s_sleep 3 // optimization: sync and wait
s_barrier
v_accvgpr_read_b32 v[vgprValuC+12], acc34 // copy acc to vreg[64]
v_accvgpr_read_b32 v[vgprValuC+13], acc35 // copy acc to vreg[65]
v_accvgpr_read_b32 v[vgprValuC+14], acc130 // copy acc to vreg[66]
v_accvgpr_read_b32 v[vgprValuC+15], acc131 // copy acc to vreg[67]
v_accvgpr_read_b32 v[vgprValuC+20], acc42 // copy acc to vreg[68]
v_accvgpr_read_b32 v[vgprValuC+21], acc43 // copy acc to vreg[69]
v_accvgpr_read_b32 v[vgprValuC+22], acc138 // copy acc to vreg[70]
v_accvgpr_read_b32 v[vgprValuC+23], acc139 // copy acc to vreg[71]
s_nop 1                                            // 2 wait states required before reading vgpr

/* rC *= alpha batchElements=[(5, 1, 0, 0), (5, 2, 0, 0)] */
v_mul_f64 v[24:25], s[sgprAlpha+0:sgprAlpha+0+1], v[vgprValuC+12:vgprValuC+12+1] // 
v_mul_f64 v[26:27], s[sgprAlpha+2:sgprAlpha+2+1], v[vgprValuC+12:vgprValuC+12+1] // 
v_fma_f64 v[vgprValuC+12:vgprValuC+12+1], s[sgprAlpha+2:sgprAlpha+2+1], -v[vgprValuC+14:vgprValuC+14+1], v[24:25]
v_fma_f64 v[vgprValuC+14:vgprValuC+14+1], s[sgprAlpha+0:sgprAlpha+0+1], v[vgprValuC+14:vgprValuC+14+1], v[26:27]
v_mul_f64 v[24:25], s[sgprAlpha+0:sgprAlpha+0+1], v[vgprValuC+20:vgprValuC+20+1] // 
v_mul_f64 v[26:27], s[sgprAlpha+2:sgprAlpha+2+1], v[vgprValuC+20:vgprValuC+20+1] // 
v_fma_f64 v[vgprValuC+20:vgprValuC+20+1], s[sgprAlpha+2:sgprAlpha+2+1], -v[vgprValuC+22:vgprValuC+22+1], v[24:25]
v_fma_f64 v[vgprValuC+22:vgprValuC+22+1], s[sgprAlpha+0:sgprAlpha+0+1], v[vgprValuC+22:vgprValuC+22+1], v[26:27]
s_waitcnt vmcnt(0)                                 // wait C

/* apply mask, calc new C and issue writes */
v_fma_f64 v[vgprValuC+12:vgprValuC+12+1], v[8:9], s[sgprBeta+0:sgprBeta+0+1], v[vgprValuC+12:vgprValuC+12+1]
v_fma_f64 v[vgprValuC+12:vgprValuC+12+1], v[10:11], -s[sgprBeta+2:sgprBeta+2+1], v[vgprValuC+12:vgprValuC+12+1]
v_fma_f64 v[vgprValuC+14:vgprValuC+14+1], v[8:9], s[sgprBeta+2:sgprBeta+2+1], v[vgprValuC+14:vgprValuC+14+1]
v_fma_f64 v[vgprValuC+14:vgprValuC+14+1], v[10:11], s[sgprBeta+0:sgprBeta+0+1], v[vgprValuC+14:vgprValuC+14+1]
_buffer_store_b128 v[12:15], v6, s[sgprSrdD:sgprSrdD+3], 0, offen, offset:0,  nt // store D
v_fma_f64 v[vgprValuC+20:vgprValuC+20+1], v[16:17], s[sgprBeta+0:sgprBeta+0+1], v[vgprValuC+20:vgprValuC+20+1]
v_fma_f64 v[vgprValuC+20:vgprValuC+20+1], v[18:19], -s[sgprBeta+2:sgprBeta+2+1], v[vgprValuC+20:vgprValuC+20+1]
v_fma_f64 v[vgprValuC+22:vgprValuC+22+1], v[16:17], s[sgprBeta+2:sgprBeta+2+1], v[vgprValuC+22:vgprValuC+22+1]
v_fma_f64 v[vgprValuC+22:vgprValuC+22+1], v[18:19], s[sgprBeta+0:sgprBeta+0+1], v[vgprValuC+22:vgprValuC+22+1]
_buffer_store_b128 v[20:23], v7, s[sgprSrdD:sgprSrdD+3], 0, offen, offset:0,  nt // store D
s_nop 0                                            // 1 wait state required when next inst writes vgprs held by previous dwordx4 store inst
/* optSingleColVgpr=0 optSharedColVgpr=0 optSGPRUsage=BufferLoad_Edge_Mask optSrdIncForRow=0 */
s_sleep 3 // optimization: sync and wait
s_barrier

/******************************************/
/* Global Write Alpha Beta Edge Batch #9 (d1,d0,vc1,vc0) = */
/*    (6,0,0,0:vw1); (6,1,0,0:vw1)        */
/******************************************/

/* calc coords, apply mask, and issue loads (if necessary) */
/* (d1,vc1,d0,vc0)=(6,0,0,0) */
_v_add_co_u32 v1, vcc, v1, 4                       // coord1.1: coord1Vgpr += d1*sg1*VW + vc1

/* Fix for UseInitialStridesCD, emitAddressSetupCode */
s_mul_i32 s60, s[sgprStrideC1J], 4                 // scale stride
_v_add_u32 v2, v2, s60                             // ROWINC- Move cinRowPtr to next row
s_mul_i32 s60, s[sgprStrideD1J], 4                 // scale stride
_v_add_u32 v3, v3, s60                             // Move coutRowPtr to next row
v_cmp_lt_u32 s[60:61], v0, s[sgprSizeI]            // coord0 < size0
v_cmp_lt_u32 s[64:65], v1, s[sgprSizeJ]            // coord1 < size1
s_and_b64 s[64:65], s[60:61], s[64:65]             // in0 && in1
_v_add_lshl_u32 v6, v2, v0, 0x4                    // scaleToBpe: accumulate d0 lower and *= bpe into Cin addr
v_cndmask_b32 v6, -1, v6, s[64:65]                 // LDC clip if OOB. offset
_buffer_load_b128 v[8:11], v6, s[sgprSrdC:sgprSrdC+3], 0, offen offset:0,  nt // load C for beta calc
_v_add_lshl_u32 v6, v3, v0, 0x4                    // scaleToBpe: accumulate d0 lower and *= bpe into Cin addr
v_cndmask_b32 v6, -1, v6, s[64:65]                 // LDD clip if OOB. offset
/* (d1,vc1,d0,vc0)=(6,0,1,0) */
_v_add_co_u32 v4, vcc, v0, 32                      // coord0.1: coord0 += d0*sg0*VW + vc0
v_cmp_lt_u32 s[60:61], v4, s[sgprSizeI]            // coord0 < size0
v_cmp_lt_u32 s[64:65], v1, s[sgprSizeJ]            // coord1 < size1
s_and_b64 s[64:65], s[60:61], s[64:65]             // in0 && in1
_v_add_lshl_u32 v7, v2, v4, 0x4                    // scaleToBpe: accumulate d0 lower and *= bpe into Cin addr
v_cndmask_b32 v7, -1, v7, s[64:65]                 // LDC clip if OOB. offset
_buffer_load_b128 v[16:19], v7, s[sgprSrdC:sgprSrdC+3], 0, offen offset:0,  nt // load C for beta calc
_v_add_lshl_u32 v7, v3, v4, 0x4                    // scaleToBpe: accumulate d0 lower and *= bpe into Cin addr
v_cndmask_b32 v7, -1, v7, s[64:65]                 // LDD clip if OOB. offset
s_sleep 3 // optimization: sync and wait
s_barrier
v_accvgpr_read_b32 v[vgprValuC+12], acc28 // copy acc to vreg[72]
v_accvgpr_read_b32 v[vgprValuC+13], acc29 // copy acc to vreg[73]
v_accvgpr_read_b32 v[vgprValuC+14], acc124 // copy acc to vreg[74]
v_accvgpr_read_b32 v[vgprValuC+15], acc125 // copy acc to vreg[75]
v_accvgpr_read_b32 v[vgprValuC+20], acc36 // copy acc to vreg[76]
v_accvgpr_read_b32 v[vgprValuC+21], acc37 // copy acc to vreg[77]
v_accvgpr_read_b32 v[vgprValuC+22], acc132 // copy acc to vreg[78]
v_accvgpr_read_b32 v[vgprValuC+23], acc133 // copy acc to vreg[79]
s_nop 1                                            // 2 wait states required before reading vgpr

/* rC *= alpha batchElements=[(6, 0, 0, 0), (6, 1, 0, 0)] */
v_mul_f64 v[24:25], s[sgprAlpha+0:sgprAlpha+0+1], v[vgprValuC+12:vgprValuC+12+1] // 
v_mul_f64 v[26:27], s[sgprAlpha+2:sgprAlpha+2+1], v[vgprValuC+12:vgprValuC+12+1] // 
v_fma_f64 v[vgprValuC+12:vgprValuC+12+1], s[sgprAlpha+2:sgprAlpha+2+1], -v[vgprValuC+14:vgprValuC+14+1], v[24:25]
v_fma_f64 v[vgprValuC+14:vgprValuC+14+1], s[sgprAlpha+0:sgprAlpha+0+1], v[vgprValuC+14:vgprValuC+14+1], v[26:27]
v_mul_f64 v[24:25], s[sgprAlpha+0:sgprAlpha+0+1], v[vgprValuC+20:vgprValuC+20+1] // 
v_mul_f64 v[26:27], s[sgprAlpha+2:sgprAlpha+2+1], v[vgprValuC+20:vgprValuC+20+1] // 
v_fma_f64 v[vgprValuC+20:vgprValuC+20+1], s[sgprAlpha+2:sgprAlpha+2+1], -v[vgprValuC+22:vgprValuC+22+1], v[24:25]
v_fma_f64 v[vgprValuC+22:vgprValuC+22+1], s[sgprAlpha+0:sgprAlpha+0+1], v[vgprValuC+22:vgprValuC+22+1], v[26:27]
s_waitcnt vmcnt(0)                                 // wait C

/* apply mask, calc new C and issue writes */
v_fma_f64 v[vgprValuC+12:vgprValuC+12+1], v[8:9], s[sgprBeta+0:sgprBeta+0+1], v[vgprValuC+12:vgprValuC+12+1]
v_fma_f64 v[vgprValuC+12:vgprValuC+12+1], v[10:11], -s[sgprBeta+2:sgprBeta+2+1], v[vgprValuC+12:vgprValuC+12+1]
v_fma_f64 v[vgprValuC+14:vgprValuC+14+1], v[8:9], s[sgprBeta+2:sgprBeta+2+1], v[vgprValuC+14:vgprValuC+14+1]
v_fma_f64 v[vgprValuC+14:vgprValuC+14+1], v[10:11], s[sgprBeta+0:sgprBeta+0+1], v[vgprValuC+14:vgprValuC+14+1]
_buffer_store_b128 v[12:15], v6, s[sgprSrdD:sgprSrdD+3], 0, offen, offset:0,  nt // store D
v_fma_f64 v[vgprValuC+20:vgprValuC+20+1], v[16:17], s[sgprBeta+0:sgprBeta+0+1], v[vgprValuC+20:vgprValuC+20+1]
v_fma_f64 v[vgprValuC+20:vgprValuC+20+1], v[18:19], -s[sgprBeta+2:sgprBeta+2+1], v[vgprValuC+20:vgprValuC+20+1]
v_fma_f64 v[vgprValuC+22:vgprValuC+22+1], v[16:17], s[sgprBeta+2:sgprBeta+2+1], v[vgprValuC+22:vgprValuC+22+1]
v_fma_f64 v[vgprValuC+22:vgprValuC+22+1], v[18:19], s[sgprBeta+0:sgprBeta+0+1], v[vgprValuC+22:vgprValuC+22+1]
_buffer_store_b128 v[20:23], v7, s[sgprSrdD:sgprSrdD+3], 0, offen, offset:0,  nt // store D
s_nop 0                                            // 1 wait state required when next inst writes vgprs held by previous dwordx4 store inst
/* optSingleColVgpr=0 optSharedColVgpr=0 optSGPRUsage=BufferLoad_Edge_Mask optSrdIncForRow=0 */
s_sleep 3 // optimization: sync and wait
s_barrier

/******************************************/
/* Global Write Alpha Beta Edge Batch #10 (d1,d0,vc1,vc0) = */
/*    (6,2,0,0:vw1); (7,0,0,0:vw1)        */
/******************************************/

/* calc coords, apply mask, and issue loads (if necessary) */
/* (d1,vc1,d0,vc0)=(6,0,2,0) */
_v_add_co_u32 v4, vcc, v0, 64                      // coord0.1: coord0 += d0*sg0*VW + vc0
v_cmp_lt_u32 s[60:61], v4, s[sgprSizeI]            // coord0 < size0
v_cmp_lt_u32 s[64:65], v1, s[sgprSizeJ]            // coord1 < size1
s_and_b64 s[64:65], s[60:61], s[64:65]             // in0 && in1
_v_add_lshl_u32 v6, v2, v4, 0x4                    // scaleToBpe: accumulate d0 lower and *= bpe into Cin addr
v_cndmask_b32 v6, -1, v6, s[64:65]                 // LDC clip if OOB. offset
_buffer_load_b128 v[8:11], v6, s[sgprSrdC:sgprSrdC+3], 0, offen offset:0,  nt // load C for beta calc
_v_add_lshl_u32 v6, v3, v4, 0x4                    // scaleToBpe: accumulate d0 lower and *= bpe into Cin addr
v_cndmask_b32 v6, -1, v6, s[64:65]                 // LDD clip if OOB. offset
/* (d1,vc1,d0,vc0)=(7,0,0,0) */
_v_add_co_u32 v1, vcc, v1, 4                       // coord1.1: coord1Vgpr += d1*sg1*VW + vc1

/* Fix for UseInitialStridesCD, emitAddressSetupCode */
s_mul_i32 s60, s[sgprStrideC1J], 4                 // scale stride
_v_add_u32 v2, v2, s60                             // ROWINC- Move cinRowPtr to next row
s_mul_i32 s60, s[sgprStrideD1J], 4                 // scale stride
_v_add_u32 v3, v3, s60                             // Move coutRowPtr to next row
v_cmp_lt_u32 s[60:61], v0, s[sgprSizeI]            // coord0 < size0
v_cmp_lt_u32 s[64:65], v1, s[sgprSizeJ]            // coord1 < size1
s_and_b64 s[64:65], s[60:61], s[64:65]             // in0 && in1
_v_add_lshl_u32 v7, v2, v0, 0x4                    // scaleToBpe: accumulate d0 lower and *= bpe into Cin addr
v_cndmask_b32 v7, -1, v7, s[64:65]                 // LDC clip if OOB. offset
_buffer_load_b128 v[16:19], v7, s[sgprSrdC:sgprSrdC+3], 0, offen offset:0,  nt // load C for beta calc
_v_add_lshl_u32 v7, v3, v0, 0x4                    // scaleToBpe: accumulate d0 lower and *= bpe into Cin addr
v_cndmask_b32 v7, -1, v7, s[64:65]                 // LDD clip if OOB. offset
s_sleep 3 // optimization: sync and wait
s_barrier
v_accvgpr_read_b32 v[vgprValuC+12], acc44 // copy acc to vreg[80]
v_accvgpr_read_b32 v[vgprValuC+13], acc45 // copy acc to vreg[81]
v_accvgpr_read_b32 v[vgprValuC+14], acc140 // copy acc to vreg[82]
v_accvgpr_read_b32 v[vgprValuC+15], acc141 // copy acc to vreg[83]
v_accvgpr_read_b32 v[vgprValuC+20], acc30 // copy acc to vreg[84]
v_accvgpr_read_b32 v[vgprValuC+21], acc31 // copy acc to vreg[85]
v_accvgpr_read_b32 v[vgprValuC+22], acc126 // copy acc to vreg[86]
v_accvgpr_read_b32 v[vgprValuC+23], acc127 // copy acc to vreg[87]
s_nop 1                                            // 2 wait states required before reading vgpr

/* rC *= alpha batchElements=[(6, 2, 0, 0), (7, 0, 0, 0)] */
v_mul_f64 v[24:25], s[sgprAlpha+0:sgprAlpha+0+1], v[vgprValuC+12:vgprValuC+12+1] // 
v_mul_f64 v[26:27], s[sgprAlpha+2:sgprAlpha+2+1], v[vgprValuC+12:vgprValuC+12+1] // 
v_fma_f64 v[vgprValuC+12:vgprValuC+12+1], s[sgprAlpha+2:sgprAlpha+2+1], -v[vgprValuC+14:vgprValuC+14+1], v[24:25]
v_fma_f64 v[vgprValuC+14:vgprValuC+14+1], s[sgprAlpha+0:sgprAlpha+0+1], v[vgprValuC+14:vgprValuC+14+1], v[26:27]
v_mul_f64 v[24:25], s[sgprAlpha+0:sgprAlpha+0+1], v[vgprValuC+20:vgprValuC+20+1] // 
v_mul_f64 v[26:27], s[sgprAlpha+2:sgprAlpha+2+1], v[vgprValuC+20:vgprValuC+20+1] // 
v_fma_f64 v[vgprValuC+20:vgprValuC+20+1], s[sgprAlpha+2:sgprAlpha+2+1], -v[vgprValuC+22:vgprValuC+22+1], v[24:25]
v_fma_f64 v[vgprValuC+22:vgprValuC+22+1], s[sgprAlpha+0:sgprAlpha+0+1], v[vgprValuC+22:vgprValuC+22+1], v[26:27]
s_waitcnt vmcnt(0)                                 // wait C

/* apply mask, calc new C and issue writes */
v_fma_f64 v[vgprValuC+12:vgprValuC+12+1], v[8:9], s[sgprBeta+0:sgprBeta+0+1], v[vgprValuC+12:vgprValuC+12+1]
v_fma_f64 v[vgprValuC+12:vgprValuC+12+1], v[10:11], -s[sgprBeta+2:sgprBeta+2+1], v[vgprValuC+12:vgprValuC+12+1]
v_fma_f64 v[vgprValuC+14:vgprValuC+14+1], v[8:9], s[sgprBeta+2:sgprBeta+2+1], v[vgprValuC+14:vgprValuC+14+1]
v_fma_f64 v[vgprValuC+14:vgprValuC+14+1], v[10:11], s[sgprBeta+0:sgprBeta+0+1], v[vgprValuC+14:vgprValuC+14+1]
_buffer_store_b128 v[12:15], v6, s[sgprSrdD:sgprSrdD+3], 0, offen, offset:0,  nt // store D
v_fma_f64 v[vgprValuC+20:vgprValuC+20+1], v[16:17], s[sgprBeta+0:sgprBeta+0+1], v[vgprValuC+20:vgprValuC+20+1]
v_fma_f64 v[vgprValuC+20:vgprValuC+20+1], v[18:19], -s[sgprBeta+2:sgprBeta+2+1], v[vgprValuC+20:vgprValuC+20+1]
v_fma_f64 v[vgprValuC+22:vgprValuC+22+1], v[16:17], s[sgprBeta+2:sgprBeta+2+1], v[vgprValuC+22:vgprValuC+22+1]
v_fma_f64 v[vgprValuC+22:vgprValuC+22+1], v[18:19], s[sgprBeta+0:sgprBeta+0+1], v[vgprValuC+22:vgprValuC+22+1]
_buffer_store_b128 v[20:23], v7, s[sgprSrdD:sgprSrdD+3], 0, offen, offset:0,  nt // store D
s_nop 0                                            // 1 wait state required when next inst writes vgprs held by previous dwordx4 store inst
/* optSingleColVgpr=0 optSharedColVgpr=0 optSGPRUsage=BufferLoad_Edge_Mask optSrdIncForRow=0 */
s_sleep 3 // optimization: sync and wait
s_barrier

/******************************************/
/* Global Write Alpha Beta Edge Batch #11 (d1,d0,vc1,vc0) = */
/*    (7,1,0,0:vw1); (7,2,0,0:vw1)        */
/******************************************/

/* calc coords, apply mask, and issue loads (if necessary) */
/* (d1,vc1,d0,vc0)=(7,0,1,0) */
_v_add_co_u32 v4, vcc, v0, 32                      // coord0.1: coord0 += d0*sg0*VW + vc0
v_cmp_lt_u32 s[60:61], v4, s[sgprSizeI]            // coord0 < size0
v_cmp_lt_u32 s[64:65], v1, s[sgprSizeJ]            // coord1 < size1
s_and_b64 s[64:65], s[60:61], s[64:65]             // in0 && in1
_v_add_lshl_u32 v6, v2, v4, 0x4                    // scaleToBpe: accumulate d0 lower and *= bpe into Cin addr
v_cndmask_b32 v6, -1, v6, s[64:65]                 // LDC clip if OOB. offset
_buffer_load_b128 v[8:11], v6, s[sgprSrdC:sgprSrdC+3], 0, offen offset:0,  nt // load C for beta calc
_v_add_lshl_u32 v6, v3, v4, 0x4                    // scaleToBpe: accumulate d0 lower and *= bpe into Cin addr
v_cndmask_b32 v6, -1, v6, s[64:65]                 // LDD clip if OOB. offset
/* (d1,vc1,d0,vc0)=(7,0,2,0) */
_v_add_co_u32 v4, vcc, v0, 64                      // coord0.1: coord0 += d0*sg0*VW + vc0
v_cmp_lt_u32 s[60:61], v4, s[sgprSizeI]            // coord0 < size0
v_cmp_lt_u32 s[64:65], v1, s[sgprSizeJ]            // coord1 < size1
s_and_b64 s[64:65], s[60:61], s[64:65]             // in0 && in1
_v_add_lshl_u32 v7, v2, v4, 0x4                    // scaleToBpe: accumulate d0 lower and *= bpe into Cin addr
v_cndmask_b32 v7, -1, v7, s[64:65]                 // LDC clip if OOB. offset
_buffer_load_b128 v[16:19], v7, s[sgprSrdC:sgprSrdC+3], 0, offen offset:0,  nt // load C for beta calc
_v_add_lshl_u32 v7, v3, v4, 0x4                    // scaleToBpe: accumulate d0 lower and *= bpe into Cin addr
v_cndmask_b32 v7, -1, v7, s[64:65]                 // LDD clip if OOB. offset
s_sleep 3 // optimization: sync and wait
s_barrier
v_accvgpr_read_b32 v[vgprValuC+12], acc38 // copy acc to vreg[88]
v_accvgpr_read_b32 v[vgprValuC+13], acc39 // copy acc to vreg[89]
v_accvgpr_read_b32 v[vgprValuC+14], acc134 // copy acc to vreg[90]
v_accvgpr_read_b32 v[vgprValuC+15], acc135 // copy acc to vreg[91]
v_accvgpr_read_b32 v[vgprValuC+20], acc46 // copy acc to vreg[92]
v_accvgpr_read_b32 v[vgprValuC+21], acc47 // copy acc to vreg[93]
v_accvgpr_read_b32 v[vgprValuC+22], acc142 // copy acc to vreg[94]
v_accvgpr_read_b32 v[vgprValuC+23], acc143 // copy acc to vreg[95]
s_nop 1                                            // 2 wait states required before reading vgpr

/* rC *= alpha batchElements=[(7, 1, 0, 0), (7, 2, 0, 0)] */
v_mul_f64 v[24:25], s[sgprAlpha+0:sgprAlpha+0+1], v[vgprValuC+12:vgprValuC+12+1] // 
v_mul_f64 v[26:27], s[sgprAlpha+2:sgprAlpha+2+1], v[vgprValuC+12:vgprValuC+12+1] // 
v_fma_f64 v[vgprValuC+12:vgprValuC+12+1], s[sgprAlpha+2:sgprAlpha+2+1], -v[vgprValuC+14:vgprValuC+14+1], v[24:25]
v_fma_f64 v[vgprValuC+14:vgprValuC+14+1], s[sgprAlpha+0:sgprAlpha+0+1], v[vgprValuC+14:vgprValuC+14+1], v[26:27]
v_mul_f64 v[24:25], s[sgprAlpha+0:sgprAlpha+0+1], v[vgprValuC+20:vgprValuC+20+1] // 
v_mul_f64 v[26:27], s[sgprAlpha+2:sgprAlpha+2+1], v[vgprValuC+20:vgprValuC+20+1] // 
v_fma_f64 v[vgprValuC+20:vgprValuC+20+1], s[sgprAlpha+2:sgprAlpha+2+1], -v[vgprValuC+22:vgprValuC+22+1], v[24:25]
v_fma_f64 v[vgprValuC+22:vgprValuC+22+1], s[sgprAlpha+0:sgprAlpha+0+1], v[vgprValuC+22:vgprValuC+22+1], v[26:27]
s_waitcnt vmcnt(0)                                 // wait C

/* apply mask, calc new C and issue writes */
v_fma_f64 v[vgprValuC+12:vgprValuC+12+1], v[8:9], s[sgprBeta+0:sgprBeta+0+1], v[vgprValuC+12:vgprValuC+12+1]
v_fma_f64 v[vgprValuC+12:vgprValuC+12+1], v[10:11], -s[sgprBeta+2:sgprBeta+2+1], v[vgprValuC+12:vgprValuC+12+1]
v_fma_f64 v[vgprValuC+14:vgprValuC+14+1], v[8:9], s[sgprBeta+2:sgprBeta+2+1], v[vgprValuC+14:vgprValuC+14+1]
v_fma_f64 v[vgprValuC+14:vgprValuC+14+1], v[10:11], s[sgprBeta+0:sgprBeta+0+1], v[vgprValuC+14:vgprValuC+14+1]
_buffer_store_b128 v[12:15], v6, s[sgprSrdD:sgprSrdD+3], 0, offen, offset:0,  nt // store D
v_fma_f64 v[vgprValuC+20:vgprValuC+20+1], v[16:17], s[sgprBeta+0:sgprBeta+0+1], v[vgprValuC+20:vgprValuC+20+1]
v_fma_f64 v[vgprValuC+20:vgprValuC+20+1], v[18:19], -s[sgprBeta+2:sgprBeta+2+1], v[vgprValuC+20:vgprValuC+20+1]
v_fma_f64 v[vgprValuC+22:vgprValuC+22+1], v[16:17], s[sgprBeta+2:sgprBeta+2+1], v[vgprValuC+22:vgprValuC+22+1]
v_fma_f64 v[vgprValuC+22:vgprValuC+22+1], v[18:19], s[sgprBeta+0:sgprBeta+0+1], v[vgprValuC+22:vgprValuC+22+1]
_buffer_store_b128 v[20:23], v7, s[sgprSrdD:sgprSrdD+3], 0, offen, offset:0,  nt // store D
s_nop 0                                            // 1 wait state required when next inst writes vgprs held by previous dwordx4 store inst
/* optSingleColVgpr=0 optSharedColVgpr=0 optSGPRUsage=BufferLoad_Edge_Mask optSrdIncForRow=0 */
s_sleep 3 // optimization: sync and wait
s_barrier

/******************************************/
/* Global Write Alpha Beta Edge Batch #12 (d1,d0,vc1,vc0) = */
/*    (8,0,0,0:vw1); (8,1,0,0:vw1)        */
/******************************************/

/* calc coords, apply mask, and issue loads (if necessary) */
/* (d1,vc1,d0,vc0)=(8,0,0,0) */
_v_add_co_u32 v1, vcc, v1, 20                      // coord1.1: coord1Vgpr += d1*sg1*VW + vc1

/* Fix for UseInitialStridesCD, emitAddressSetupCode */
s_mul_i32 s60, s[sgprStrideC1J], 20                // scale stride
_v_add_u32 v2, v2, s60                             // ROWINC- Move cinRowPtr to next row
s_mul_i32 s60, s[sgprStrideD1J], 20                // scale stride
_v_add_u32 v3, v3, s60                             // Move coutRowPtr to next row
v_cmp_lt_u32 s[60:61], v0, s[sgprSizeI]            // coord0 < size0
v_cmp_lt_u32 s[64:65], v1, s[sgprSizeJ]            // coord1 < size1
s_and_b64 s[64:65], s[60:61], s[64:65]             // in0 && in1
_v_add_lshl_u32 v6, v2, v0, 0x4                    // scaleToBpe: accumulate d0 lower and *= bpe into Cin addr
v_cndmask_b32 v6, -1, v6, s[64:65]                 // LDC clip if OOB. offset
_buffer_load_b128 v[8:11], v6, s[sgprSrdC:sgprSrdC+3], 0, offen offset:0,  nt // load C for beta calc
_v_add_lshl_u32 v6, v3, v0, 0x4                    // scaleToBpe: accumulate d0 lower and *= bpe into Cin addr
v_cndmask_b32 v6, -1, v6, s[64:65]                 // LDD clip if OOB. offset
/* (d1,vc1,d0,vc0)=(8,0,1,0) */
_v_add_co_u32 v4, vcc, v0, 32                      // coord0.1: coord0 += d0*sg0*VW + vc0
v_cmp_lt_u32 s[60:61], v4, s[sgprSizeI]            // coord0 < size0
v_cmp_lt_u32 s[64:65], v1, s[sgprSizeJ]            // coord1 < size1
s_and_b64 s[64:65], s[60:61], s[64:65]             // in0 && in1
_v_add_lshl_u32 v7, v2, v4, 0x4                    // scaleToBpe: accumulate d0 lower and *= bpe into Cin addr
v_cndmask_b32 v7, -1, v7, s[64:65]                 // LDC clip if OOB. offset
_buffer_load_b128 v[16:19], v7, s[sgprSrdC:sgprSrdC+3], 0, offen offset:0,  nt // load C for beta calc
_v_add_lshl_u32 v7, v3, v4, 0x4                    // scaleToBpe: accumulate d0 lower and *= bpe into Cin addr
v_cndmask_b32 v7, -1, v7, s[64:65]                 // LDD clip if OOB. offset
s_sleep 3 // optimization: sync and wait
s_barrier
v_accvgpr_read_b32 v[vgprValuC+12], acc48 // copy acc to vreg[96]
v_accvgpr_read_b32 v[vgprValuC+13], acc49 // copy acc to vreg[97]
v_accvgpr_read_b32 v[vgprValuC+14], acc144 // copy acc to vreg[98]
v_accvgpr_read_b32 v[vgprValuC+15], acc145 // copy acc to vreg[99]
v_accvgpr_read_b32 v[vgprValuC+20], acc56 // copy acc to vreg[100]
v_accvgpr_read_b32 v[vgprValuC+21], acc57 // copy acc to vreg[101]
v_accvgpr_read_b32 v[vgprValuC+22], acc152 // copy acc to vreg[102]
v_accvgpr_read_b32 v[vgprValuC+23], acc153 // copy acc to vreg[103]
s_nop 1                                            // 2 wait states required before reading vgpr

/* rC *= alpha batchElements=[(8, 0, 0, 0), (8, 1, 0, 0)] */
v_mul_f64 v[24:25], s[sgprAlpha+0:sgprAlpha+0+1], v[vgprValuC+12:vgprValuC+12+1] // 
v_mul_f64 v[26:27], s[sgprAlpha+2:sgprAlpha+2+1], v[vgprValuC+12:vgprValuC+12+1] // 
v_fma_f64 v[vgprValuC+12:vgprValuC+12+1], s[sgprAlpha+2:sgprAlpha+2+1], -v[vgprValuC+14:vgprValuC+14+1], v[24:25]
v_fma_f64 v[vgprValuC+14:vgprValuC+14+1], s[sgprAlpha+0:sgprAlpha+0+1], v[vgprValuC+14:vgprValuC+14+1], v[26:27]
v_mul_f64 v[24:25], s[sgprAlpha+0:sgprAlpha+0+1], v[vgprValuC+20:vgprValuC+20+1] // 
v_mul_f64 v[26:27], s[sgprAlpha+2:sgprAlpha+2+1], v[vgprValuC+20:vgprValuC+20+1] // 
v_fma_f64 v[vgprValuC+20:vgprValuC+20+1], s[sgprAlpha+2:sgprAlpha+2+1], -v[vgprValuC+22:vgprValuC+22+1], v[24:25]
v_fma_f64 v[vgprValuC+22:vgprValuC+22+1], s[sgprAlpha+0:sgprAlpha+0+1], v[vgprValuC+22:vgprValuC+22+1], v[26:27]
s_waitcnt vmcnt(0)                                 // wait C

/* apply mask, calc new C and issue writes */
v_fma_f64 v[vgprValuC+12:vgprValuC+12+1], v[8:9], s[sgprBeta+0:sgprBeta+0+1], v[vgprValuC+12:vgprValuC+12+1]
v_fma_f64 v[vgprValuC+12:vgprValuC+12+1], v[10:11], -s[sgprBeta+2:sgprBeta+2+1], v[vgprValuC+12:vgprValuC+12+1]
v_fma_f64 v[vgprValuC+14:vgprValuC+14+1], v[8:9], s[sgprBeta+2:sgprBeta+2+1], v[vgprValuC+14:vgprValuC+14+1]
v_fma_f64 v[vgprValuC+14:vgprValuC+14+1], v[10:11], s[sgprBeta+0:sgprBeta+0+1], v[vgprValuC+14:vgprValuC+14+1]
_buffer_store_b128 v[12:15], v6, s[sgprSrdD:sgprSrdD+3], 0, offen, offset:0,  nt // store D
v_fma_f64 v[vgprValuC+20:vgprValuC+20+1], v[16:17], s[sgprBeta+0:sgprBeta+0+1], v[vgprValuC+20:vgprValuC+20+1]
v_fma_f64 v[vgprValuC+20:vgprValuC+20+1], v[18:19], -s[sgprBeta+2:sgprBeta+2+1], v[vgprValuC+20:vgprValuC+20+1]
v_fma_f64 v[vgprValuC+22:vgprValuC+22+1], v[16:17], s[sgprBeta+2:sgprBeta+2+1], v[vgprValuC+22:vgprValuC+22+1]
v_fma_f64 v[vgprValuC+22:vgprValuC+22+1], v[18:19], s[sgprBeta+0:sgprBeta+0+1], v[vgprValuC+22:vgprValuC+22+1]
_buffer_store_b128 v[20:23], v7, s[sgprSrdD:sgprSrdD+3], 0, offen, offset:0,  nt // store D
s_nop 0                                            // 1 wait state required when next inst writes vgprs held by previous dwordx4 store inst
/* optSingleColVgpr=0 optSharedColVgpr=0 optSGPRUsage=BufferLoad_Edge_Mask optSrdIncForRow=0 */
s_sleep 3 // optimization: sync and wait
s_barrier

/******************************************/
/* Global Write Alpha Beta Edge Batch #13 (d1,d0,vc1,vc0) = */
/*    (8,2,0,0:vw1); (9,0,0,0:vw1)        */
/******************************************/

/* calc coords, apply mask, and issue loads (if necessary) */
/* (d1,vc1,d0,vc0)=(8,0,2,0) */
_v_add_co_u32 v4, vcc, v0, 64                      // coord0.1: coord0 += d0*sg0*VW + vc0
v_cmp_lt_u32 s[60:61], v4, s[sgprSizeI]            // coord0 < size0
v_cmp_lt_u32 s[64:65], v1, s[sgprSizeJ]            // coord1 < size1
s_and_b64 s[64:65], s[60:61], s[64:65]             // in0 && in1
_v_add_lshl_u32 v6, v2, v4, 0x4                    // scaleToBpe: accumulate d0 lower and *= bpe into Cin addr
v_cndmask_b32 v6, -1, v6, s[64:65]                 // LDC clip if OOB. offset
_buffer_load_b128 v[8:11], v6, s[sgprSrdC:sgprSrdC+3], 0, offen offset:0,  nt // load C for beta calc
_v_add_lshl_u32 v6, v3, v4, 0x4                    // scaleToBpe: accumulate d0 lower and *= bpe into Cin addr
v_cndmask_b32 v6, -1, v6, s[64:65]                 // LDD clip if OOB. offset
/* (d1,vc1,d0,vc0)=(9,0,0,0) */
_v_add_co_u32 v1, vcc, v1, 4                       // coord1.1: coord1Vgpr += d1*sg1*VW + vc1

/* Fix for UseInitialStridesCD, emitAddressSetupCode */
s_mul_i32 s60, s[sgprStrideC1J], 4                 // scale stride
_v_add_u32 v2, v2, s60                             // ROWINC- Move cinRowPtr to next row
s_mul_i32 s60, s[sgprStrideD1J], 4                 // scale stride
_v_add_u32 v3, v3, s60                             // Move coutRowPtr to next row
v_cmp_lt_u32 s[60:61], v0, s[sgprSizeI]            // coord0 < size0
v_cmp_lt_u32 s[64:65], v1, s[sgprSizeJ]            // coord1 < size1
s_and_b64 s[64:65], s[60:61], s[64:65]             // in0 && in1
_v_add_lshl_u32 v7, v2, v0, 0x4                    // scaleToBpe: accumulate d0 lower and *= bpe into Cin addr
v_cndmask_b32 v7, -1, v7, s[64:65]                 // LDC clip if OOB. offset
_buffer_load_b128 v[16:19], v7, s[sgprSrdC:sgprSrdC+3], 0, offen offset:0,  nt // load C for beta calc
_v_add_lshl_u32 v7, v3, v0, 0x4                    // scaleToBpe: accumulate d0 lower and *= bpe into Cin addr
v_cndmask_b32 v7, -1, v7, s[64:65]                 // LDD clip if OOB. offset
s_sleep 3 // optimization: sync and wait
s_barrier
v_accvgpr_read_b32 v[vgprValuC+12], acc64 // copy acc to vreg[104]
v_accvgpr_read_b32 v[vgprValuC+13], acc65 // copy acc to vreg[105]
v_accvgpr_read_b32 v[vgprValuC+14], acc160 // copy acc to vreg[106]
v_accvgpr_read_b32 v[vgprValuC+15], acc161 // copy acc to vreg[107]
v_accvgpr_read_b32 v[vgprValuC+20], acc50 // copy acc to vreg[108]
v_accvgpr_read_b32 v[vgprValuC+21], acc51 // copy acc to vreg[109]
v_accvgpr_read_b32 v[vgprValuC+22], acc146 // copy acc to vreg[110]
v_accvgpr_read_b32 v[vgprValuC+23], acc147 // copy acc to vreg[111]
s_nop 1                                            // 2 wait states required before reading vgpr

/* rC *= alpha batchElements=[(8, 2, 0, 0), (9, 0, 0, 0)] */
v_mul_f64 v[24:25], s[sgprAlpha+0:sgprAlpha+0+1], v[vgprValuC+12:vgprValuC+12+1] // 
v_mul_f64 v[26:27], s[sgprAlpha+2:sgprAlpha+2+1], v[vgprValuC+12:vgprValuC+12+1] // 
v_fma_f64 v[vgprValuC+12:vgprValuC+12+1], s[sgprAlpha+2:sgprAlpha+2+1], -v[vgprValuC+14:vgprValuC+14+1], v[24:25]
v_fma_f64 v[vgprValuC+14:vgprValuC+14+1], s[sgprAlpha+0:sgprAlpha+0+1], v[vgprValuC+14:vgprValuC+14+1], v[26:27]
v_mul_f64 v[24:25], s[sgprAlpha+0:sgprAlpha+0+1], v[vgprValuC+20:vgprValuC+20+1] // 
v_mul_f64 v[26:27], s[sgprAlpha+2:sgprAlpha+2+1], v[vgprValuC+20:vgprValuC+20+1] // 
v_fma_f64 v[vgprValuC+20:vgprValuC+20+1], s[sgprAlpha+2:sgprAlpha+2+1], -v[vgprValuC+22:vgprValuC+22+1], v[24:25]
v_fma_f64 v[vgprValuC+22:vgprValuC+22+1], s[sgprAlpha+0:sgprAlpha+0+1], v[vgprValuC+22:vgprValuC+22+1], v[26:27]
s_waitcnt vmcnt(0)                                 // wait C

/* apply mask, calc new C and issue writes */
v_fma_f64 v[vgprValuC+12:vgprValuC+12+1], v[8:9], s[sgprBeta+0:sgprBeta+0+1], v[vgprValuC+12:vgprValuC+12+1]
v_fma_f64 v[vgprValuC+12:vgprValuC+12+1], v[10:11], -s[sgprBeta+2:sgprBeta+2+1], v[vgprValuC+12:vgprValuC+12+1]
v_fma_f64 v[vgprValuC+14:vgprValuC+14+1], v[8:9], s[sgprBeta+2:sgprBeta+2+1], v[vgprValuC+14:vgprValuC+14+1]
v_fma_f64 v[vgprValuC+14:vgprValuC+14+1], v[10:11], s[sgprBeta+0:sgprBeta+0+1], v[vgprValuC+14:vgprValuC+14+1]
_buffer_store_b128 v[12:15], v6, s[sgprSrdD:sgprSrdD+3], 0, offen, offset:0,  nt // store D
v_fma_f64 v[vgprValuC+20:vgprValuC+20+1], v[16:17], s[sgprBeta+0:sgprBeta+0+1], v[vgprValuC+20:vgprValuC+20+1]
v_fma_f64 v[vgprValuC+20:vgprValuC+20+1], v[18:19], -s[sgprBeta+2:sgprBeta+2+1], v[vgprValuC+20:vgprValuC+20+1]
v_fma_f64 v[vgprValuC+22:vgprValuC+22+1], v[16:17], s[sgprBeta+2:sgprBeta+2+1], v[vgprValuC+22:vgprValuC+22+1]
v_fma_f64 v[vgprValuC+22:vgprValuC+22+1], v[18:19], s[sgprBeta+0:sgprBeta+0+1], v[vgprValuC+22:vgprValuC+22+1]
_buffer_store_b128 v[20:23], v7, s[sgprSrdD:sgprSrdD+3], 0, offen, offset:0,  nt // store D
s_nop 0                                            // 1 wait state required when next inst writes vgprs held by previous dwordx4 store inst
/* optSingleColVgpr=0 optSharedColVgpr=0 optSGPRUsage=BufferLoad_Edge_Mask optSrdIncForRow=0 */
s_sleep 3 // optimization: sync and wait
s_barrier

/******************************************/
/* Global Write Alpha Beta Edge Batch #14 (d1,d0,vc1,vc0) = */
/*    (9,1,0,0:vw1); (9,2,0,0:vw1)        */
/******************************************/

/* calc coords, apply mask, and issue loads (if necessary) */
/* (d1,vc1,d0,vc0)=(9,0,1,0) */
_v_add_co_u32 v4, vcc, v0, 32                      // coord0.1: coord0 += d0*sg0*VW + vc0
v_cmp_lt_u32 s[60:61], v4, s[sgprSizeI]            // coord0 < size0
v_cmp_lt_u32 s[64:65], v1, s[sgprSizeJ]            // coord1 < size1
s_and_b64 s[64:65], s[60:61], s[64:65]             // in0 && in1
_v_add_lshl_u32 v6, v2, v4, 0x4                    // scaleToBpe: accumulate d0 lower and *= bpe into Cin addr
v_cndmask_b32 v6, -1, v6, s[64:65]                 // LDC clip if OOB. offset
_buffer_load_b128 v[8:11], v6, s[sgprSrdC:sgprSrdC+3], 0, offen offset:0,  nt // load C for beta calc
_v_add_lshl_u32 v6, v3, v4, 0x4                    // scaleToBpe: accumulate d0 lower and *= bpe into Cin addr
v_cndmask_b32 v6, -1, v6, s[64:65]                 // LDD clip if OOB. offset
/* (d1,vc1,d0,vc0)=(9,0,2,0) */
_v_add_co_u32 v4, vcc, v0, 64                      // coord0.1: coord0 += d0*sg0*VW + vc0
v_cmp_lt_u32 s[60:61], v4, s[sgprSizeI]            // coord0 < size0
v_cmp_lt_u32 s[64:65], v1, s[sgprSizeJ]            // coord1 < size1
s_and_b64 s[64:65], s[60:61], s[64:65]             // in0 && in1
_v_add_lshl_u32 v7, v2, v4, 0x4                    // scaleToBpe: accumulate d0 lower and *= bpe into Cin addr
v_cndmask_b32 v7, -1, v7, s[64:65]                 // LDC clip if OOB. offset
_buffer_load_b128 v[16:19], v7, s[sgprSrdC:sgprSrdC+3], 0, offen offset:0,  nt // load C for beta calc
_v_add_lshl_u32 v7, v3, v4, 0x4                    // scaleToBpe: accumulate d0 lower and *= bpe into Cin addr
v_cndmask_b32 v7, -1, v7, s[64:65]                 // LDD clip if OOB. offset
s_sleep 3 // optimization: sync and wait
s_barrier
v_accvgpr_read_b32 v[vgprValuC+12], acc58 // copy acc to vreg[112]
v_accvgpr_read_b32 v[vgprValuC+13], acc59 // copy acc to vreg[113]
v_accvgpr_read_b32 v[vgprValuC+14], acc154 // copy acc to vreg[114]
v_accvgpr_read_b32 v[vgprValuC+15], acc155 // copy acc to vreg[115]
v_accvgpr_read_b32 v[vgprValuC+20], acc66 // copy acc to vreg[116]
v_accvgpr_read_b32 v[vgprValuC+21], acc67 // copy acc to vreg[117]
v_accvgpr_read_b32 v[vgprValuC+22], acc162 // copy acc to vreg[118]
v_accvgpr_read_b32 v[vgprValuC+23], acc163 // copy acc to vreg[119]
s_nop 1                                            // 2 wait states required before reading vgpr

/* rC *= alpha batchElements=[(9, 1, 0, 0), (9, 2, 0, 0)] */
v_mul_f64 v[24:25], s[sgprAlpha+0:sgprAlpha+0+1], v[vgprValuC+12:vgprValuC+12+1] // 
v_mul_f64 v[26:27], s[sgprAlpha+2:sgprAlpha+2+1], v[vgprValuC+12:vgprValuC+12+1] // 
v_fma_f64 v[vgprValuC+12:vgprValuC+12+1], s[sgprAlpha+2:sgprAlpha+2+1], -v[vgprValuC+14:vgprValuC+14+1], v[24:25]
v_fma_f64 v[vgprValuC+14:vgprValuC+14+1], s[sgprAlpha+0:sgprAlpha+0+1], v[vgprValuC+14:vgprValuC+14+1], v[26:27]
v_mul_f64 v[24:25], s[sgprAlpha+0:sgprAlpha+0+1], v[vgprValuC+20:vgprValuC+20+1] // 
v_mul_f64 v[26:27], s[sgprAlpha+2:sgprAlpha+2+1], v[vgprValuC+20:vgprValuC+20+1] // 
v_fma_f64 v[vgprValuC+20:vgprValuC+20+1], s[sgprAlpha+2:sgprAlpha+2+1], -v[vgprValuC+22:vgprValuC+22+1], v[24:25]
v_fma_f64 v[vgprValuC+22:vgprValuC+22+1], s[sgprAlpha+0:sgprAlpha+0+1], v[vgprValuC+22:vgprValuC+22+1], v[26:27]
s_waitcnt vmcnt(0)                                 // wait C

/* apply mask, calc new C and issue writes */
v_fma_f64 v[vgprValuC+12:vgprValuC+12+1], v[8:9], s[sgprBeta+0:sgprBeta+0+1], v[vgprValuC+12:vgprValuC+12+1]
v_fma_f64 v[vgprValuC+12:vgprValuC+12+1], v[10:11], -s[sgprBeta+2:sgprBeta+2+1], v[vgprValuC+12:vgprValuC+12+1]
v_fma_f64 v[vgprValuC+14:vgprValuC+14+1], v[8:9], s[sgprBeta+2:sgprBeta+2+1], v[vgprValuC+14:vgprValuC+14+1]
v_fma_f64 v[vgprValuC+14:vgprValuC+14+1], v[10:11], s[sgprBeta+0:sgprBeta+0+1], v[vgprValuC+14:vgprValuC+14+1]
_buffer_store_b128 v[12:15], v6, s[sgprSrdD:sgprSrdD+3], 0, offen, offset:0,  nt // store D
v_fma_f64 v[vgprValuC+20:vgprValuC+20+1], v[16:17], s[sgprBeta+0:sgprBeta+0+1], v[vgprValuC+20:vgprValuC+20+1]
v_fma_f64 v[vgprValuC+20:vgprValuC+20+1], v[18:19], -s[sgprBeta+2:sgprBeta+2+1], v[vgprValuC+20:vgprValuC+20+1]
v_fma_f64 v[vgprValuC+22:vgprValuC+22+1], v[16:17], s[sgprBeta+2:sgprBeta+2+1], v[vgprValuC+22:vgprValuC+22+1]
v_fma_f64 v[vgprValuC+22:vgprValuC+22+1], v[18:19], s[sgprBeta+0:sgprBeta+0+1], v[vgprValuC+22:vgprValuC+22+1]
_buffer_store_b128 v[20:23], v7, s[sgprSrdD:sgprSrdD+3], 0, offen, offset:0,  nt // store D
s_nop 0                                            // 1 wait state required when next inst writes vgprs held by previous dwordx4 store inst
/* optSingleColVgpr=0 optSharedColVgpr=0 optSGPRUsage=BufferLoad_Edge_Mask optSrdIncForRow=0 */
s_sleep 3 // optimization: sync and wait
s_barrier

/******************************************/
/* Global Write Alpha Beta Edge Batch #15 (d1,d0,vc1,vc0) = */
/*    (10,0,0,0:vw1); (10,1,0,0:vw1)      */
/******************************************/

/* calc coords, apply mask, and issue loads (if necessary) */
/* (d1,vc1,d0,vc0)=(10,0,0,0) */
_v_add_co_u32 v1, vcc, v1, 4                       // coord1.1: coord1Vgpr += d1*sg1*VW + vc1

/* Fix for UseInitialStridesCD, emitAddressSetupCode */
s_mul_i32 s60, s[sgprStrideC1J], 4                 // scale stride
_v_add_u32 v2, v2, s60                             // ROWINC- Move cinRowPtr to next row
s_mul_i32 s60, s[sgprStrideD1J], 4                 // scale stride
_v_add_u32 v3, v3, s60                             // Move coutRowPtr to next row
v_cmp_lt_u32 s[60:61], v0, s[sgprSizeI]            // coord0 < size0
v_cmp_lt_u32 s[64:65], v1, s[sgprSizeJ]            // coord1 < size1
s_and_b64 s[64:65], s[60:61], s[64:65]             // in0 && in1
_v_add_lshl_u32 v6, v2, v0, 0x4                    // scaleToBpe: accumulate d0 lower and *= bpe into Cin addr
v_cndmask_b32 v6, -1, v6, s[64:65]                 // LDC clip if OOB. offset
_buffer_load_b128 v[8:11], v6, s[sgprSrdC:sgprSrdC+3], 0, offen offset:0,  nt // load C for beta calc
_v_add_lshl_u32 v6, v3, v0, 0x4                    // scaleToBpe: accumulate d0 lower and *= bpe into Cin addr
v_cndmask_b32 v6, -1, v6, s[64:65]                 // LDD clip if OOB. offset
/* (d1,vc1,d0,vc0)=(10,0,1,0) */
_v_add_co_u32 v4, vcc, v0, 32                      // coord0.1: coord0 += d0*sg0*VW + vc0
v_cmp_lt_u32 s[60:61], v4, s[sgprSizeI]            // coord0 < size0
v_cmp_lt_u32 s[64:65], v1, s[sgprSizeJ]            // coord1 < size1
s_and_b64 s[64:65], s[60:61], s[64:65]             // in0 && in1
_v_add_lshl_u32 v7, v2, v4, 0x4                    // scaleToBpe: accumulate d0 lower and *= bpe into Cin addr
v_cndmask_b32 v7, -1, v7, s[64:65]                 // LDC clip if OOB. offset
_buffer_load_b128 v[16:19], v7, s[sgprSrdC:sgprSrdC+3], 0, offen offset:0,  nt // load C for beta calc
_v_add_lshl_u32 v7, v3, v4, 0x4                    // scaleToBpe: accumulate d0 lower and *= bpe into Cin addr
v_cndmask_b32 v7, -1, v7, s[64:65]                 // LDD clip if OOB. offset
s_sleep 3 // optimization: sync and wait
s_barrier
v_accvgpr_read_b32 v[vgprValuC+12], acc52 // copy acc to vreg[120]
v_accvgpr_read_b32 v[vgprValuC+13], acc53 // copy acc to vreg[121]
v_accvgpr_read_b32 v[vgprValuC+14], acc148 // copy acc to vreg[122]
v_accvgpr_read_b32 v[vgprValuC+15], acc149 // copy acc to vreg[123]
v_accvgpr_read_b32 v[vgprValuC+20], acc60 // copy acc to vreg[124]
v_accvgpr_read_b32 v[vgprValuC+21], acc61 // copy acc to vreg[125]
v_accvgpr_read_b32 v[vgprValuC+22], acc156 // copy acc to vreg[126]
v_accvgpr_read_b32 v[vgprValuC+23], acc157 // copy acc to vreg[127]
s_nop 1                                            // 2 wait states required before reading vgpr

/* rC *= alpha batchElements=[(10, 0, 0, 0), (10, 1, 0, 0)] */
v_mul_f64 v[24:25], s[sgprAlpha+0:sgprAlpha+0+1], v[vgprValuC+12:vgprValuC+12+1] // 
v_mul_f64 v[26:27], s[sgprAlpha+2:sgprAlpha+2+1], v[vgprValuC+12:vgprValuC+12+1] // 
v_fma_f64 v[vgprValuC+12:vgprValuC+12+1], s[sgprAlpha+2:sgprAlpha+2+1], -v[vgprValuC+14:vgprValuC+14+1], v[24:25]
v_fma_f64 v[vgprValuC+14:vgprValuC+14+1], s[sgprAlpha+0:sgprAlpha+0+1], v[vgprValuC+14:vgprValuC+14+1], v[26:27]
v_mul_f64 v[24:25], s[sgprAlpha+0:sgprAlpha+0+1], v[vgprValuC+20:vgprValuC+20+1] // 
v_mul_f64 v[26:27], s[sgprAlpha+2:sgprAlpha+2+1], v[vgprValuC+20:vgprValuC+20+1] // 
v_fma_f64 v[vgprValuC+20:vgprValuC+20+1], s[sgprAlpha+2:sgprAlpha+2+1], -v[vgprValuC+22:vgprValuC+22+1], v[24:25]
v_fma_f64 v[vgprValuC+22:vgprValuC+22+1], s[sgprAlpha+0:sgprAlpha+0+1], v[vgprValuC+22:vgprValuC+22+1], v[26:27]
s_waitcnt vmcnt(0)                                 // wait C

/* apply mask, calc new C and issue writes */
v_fma_f64 v[vgprValuC+12:vgprValuC+12+1], v[8:9], s[sgprBeta+0:sgprBeta+0+1], v[vgprValuC+12:vgprValuC+12+1]
v_fma_f64 v[vgprValuC+12:vgprValuC+12+1], v[10:11], -s[sgprBeta+2:sgprBeta+2+1], v[vgprValuC+12:vgprValuC+12+1]
v_fma_f64 v[vgprValuC+14:vgprValuC+14+1], v[8:9], s[sgprBeta+2:sgprBeta+2+1], v[vgprValuC+14:vgprValuC+14+1]
v_fma_f64 v[vgprValuC+14:vgprValuC+14+1], v[10:11], s[sgprBeta+0:sgprBeta+0+1], v[vgprValuC+14:vgprValuC+14+1]
_buffer_store_b128 v[12:15], v6, s[sgprSrdD:sgprSrdD+3], 0, offen, offset:0,  nt // store D
v_fma_f64 v[vgprValuC+20:vgprValuC+20+1], v[16:17], s[sgprBeta+0:sgprBeta+0+1], v[vgprValuC+20:vgprValuC+20+1]
v_fma_f64 v[vgprValuC+20:vgprValuC+20+1], v[18:19], -s[sgprBeta+2:sgprBeta+2+1], v[vgprValuC+20:vgprValuC+20+1]
v_fma_f64 v[vgprValuC+22:vgprValuC+22+1], v[16:17], s[sgprBeta+2:sgprBeta+2+1], v[vgprValuC+22:vgprValuC+22+1]
v_fma_f64 v[vgprValuC+22:vgprValuC+22+1], v[18:19], s[sgprBeta+0:sgprBeta+0+1], v[vgprValuC+22:vgprValuC+22+1]
_buffer_store_b128 v[20:23], v7, s[sgprSrdD:sgprSrdD+3], 0, offen, offset:0,  nt // store D
s_nop 0                                            // 1 wait state required when next inst writes vgprs held by previous dwordx4 store inst
/* optSingleColVgpr=0 optSharedColVgpr=0 optSGPRUsage=BufferLoad_Edge_Mask optSrdIncForRow=0 */
s_sleep 3 // optimization: sync and wait
s_barrier

/******************************************/
/* Global Write Alpha Beta Edge Batch #16 (d1,d0,vc1,vc0) = */
/*    (10,2,0,0:vw1); (11,0,0,0:vw1)      */
/******************************************/

/* calc coords, apply mask, and issue loads (if necessary) */
/* (d1,vc1,d0,vc0)=(10,0,2,0) */
_v_add_co_u32 v4, vcc, v0, 64                      // coord0.1: coord0 += d0*sg0*VW + vc0
v_cmp_lt_u32 s[60:61], v4, s[sgprSizeI]            // coord0 < size0
v_cmp_lt_u32 s[64:65], v1, s[sgprSizeJ]            // coord1 < size1
s_and_b64 s[64:65], s[60:61], s[64:65]             // in0 && in1
_v_add_lshl_u32 v6, v2, v4, 0x4                    // scaleToBpe: accumulate d0 lower and *= bpe into Cin addr
v_cndmask_b32 v6, -1, v6, s[64:65]                 // LDC clip if OOB. offset
_buffer_load_b128 v[8:11], v6, s[sgprSrdC:sgprSrdC+3], 0, offen offset:0,  nt // load C for beta calc
_v_add_lshl_u32 v6, v3, v4, 0x4                    // scaleToBpe: accumulate d0 lower and *= bpe into Cin addr
v_cndmask_b32 v6, -1, v6, s[64:65]                 // LDD clip if OOB. offset
/* (d1,vc1,d0,vc0)=(11,0,0,0) */
_v_add_co_u32 v1, vcc, v1, 4                       // coord1.1: coord1Vgpr += d1*sg1*VW + vc1

/* Fix for UseInitialStridesCD, emitAddressSetupCode */
s_mul_i32 s60, s[sgprStrideC1J], 4                 // scale stride
_v_add_u32 v2, v2, s60                             // ROWINC- Move cinRowPtr to next row
s_mul_i32 s60, s[sgprStrideD1J], 4                 // scale stride
_v_add_u32 v3, v3, s60                             // Move coutRowPtr to next row
v_cmp_lt_u32 s[60:61], v0, s[sgprSizeI]            // coord0 < size0
v_cmp_lt_u32 s[64:65], v1, s[sgprSizeJ]            // coord1 < size1
s_and_b64 s[64:65], s[60:61], s[64:65]             // in0 && in1
_v_add_lshl_u32 v7, v2, v0, 0x4                    // scaleToBpe: accumulate d0 lower and *= bpe into Cin addr
v_cndmask_b32 v7, -1, v7, s[64:65]                 // LDC clip if OOB. offset
_buffer_load_b128 v[16:19], v7, s[sgprSrdC:sgprSrdC+3], 0, offen offset:0,  nt // load C for beta calc
_v_add_lshl_u32 v7, v3, v0, 0x4                    // scaleToBpe: accumulate d0 lower and *= bpe into Cin addr
v_cndmask_b32 v7, -1, v7, s[64:65]                 // LDD clip if OOB. offset
s_sleep 3 // optimization: sync and wait
s_barrier
v_accvgpr_read_b32 v[vgprValuC+12], acc68 // copy acc to vreg[128]
v_accvgpr_read_b32 v[vgprValuC+13], acc69 // copy acc to vreg[129]
v_accvgpr_read_b32 v[vgprValuC+14], acc164 // copy acc to vreg[130]
v_accvgpr_read_b32 v[vgprValuC+15], acc165 // copy acc to vreg[131]
v_accvgpr_read_b32 v[vgprValuC+20], acc54 // copy acc to vreg[132]
v_accvgpr_read_b32 v[vgprValuC+21], acc55 // copy acc to vreg[133]
v_accvgpr_read_b32 v[vgprValuC+22], acc150 // copy acc to vreg[134]
v_accvgpr_read_b32 v[vgprValuC+23], acc151 // copy acc to vreg[135]
s_nop 1                                            // 2 wait states required before reading vgpr

/* rC *= alpha batchElements=[(10, 2, 0, 0), (11, 0, 0, 0)] */
v_mul_f64 v[24:25], s[sgprAlpha+0:sgprAlpha+0+1], v[vgprValuC+12:vgprValuC+12+1] // 
v_mul_f64 v[26:27], s[sgprAlpha+2:sgprAlpha+2+1], v[vgprValuC+12:vgprValuC+12+1] // 
v_fma_f64 v[vgprValuC+12:vgprValuC+12+1], s[sgprAlpha+2:sgprAlpha+2+1], -v[vgprValuC+14:vgprValuC+14+1], v[24:25]
v_fma_f64 v[vgprValuC+14:vgprValuC+14+1], s[sgprAlpha+0:sgprAlpha+0+1], v[vgprValuC+14:vgprValuC+14+1], v[26:27]
v_mul_f64 v[24:25], s[sgprAlpha+0:sgprAlpha+0+1], v[vgprValuC+20:vgprValuC+20+1] // 
v_mul_f64 v[26:27], s[sgprAlpha+2:sgprAlpha+2+1], v[vgprValuC+20:vgprValuC+20+1] // 
v_fma_f64 v[vgprValuC+20:vgprValuC+20+1], s[sgprAlpha+2:sgprAlpha+2+1], -v[vgprValuC+22:vgprValuC+22+1], v[24:25]
v_fma_f64 v[vgprValuC+22:vgprValuC+22+1], s[sgprAlpha+0:sgprAlpha+0+1], v[vgprValuC+22:vgprValuC+22+1], v[26:27]
s_waitcnt vmcnt(0)                                 // wait C

/* apply mask, calc new C and issue writes */
v_fma_f64 v[vgprValuC+12:vgprValuC+12+1], v[8:9], s[sgprBeta+0:sgprBeta+0+1], v[vgprValuC+12:vgprValuC+12+1]
v_fma_f64 v[vgprValuC+12:vgprValuC+12+1], v[10:11], -s[sgprBeta+2:sgprBeta+2+1], v[vgprValuC+12:vgprValuC+12+1]
v_fma_f64 v[vgprValuC+14:vgprValuC+14+1], v[8:9], s[sgprBeta+2:sgprBeta+2+1], v[vgprValuC+14:vgprValuC+14+1]
v_fma_f64 v[vgprValuC+14:vgprValuC+14+1], v[10:11], s[sgprBeta+0:sgprBeta+0+1], v[vgprValuC+14:vgprValuC+14+1]
_buffer_store_b128 v[12:15], v6, s[sgprSrdD:sgprSrdD+3], 0, offen, offset:0,  nt // store D
v_fma_f64 v[vgprValuC+20:vgprValuC+20+1], v[16:17], s[sgprBeta+0:sgprBeta+0+1], v[vgprValuC+20:vgprValuC+20+1]
v_fma_f64 v[vgprValuC+20:vgprValuC+20+1], v[18:19], -s[sgprBeta+2:sgprBeta+2+1], v[vgprValuC+20:vgprValuC+20+1]
v_fma_f64 v[vgprValuC+22:vgprValuC+22+1], v[16:17], s[sgprBeta+2:sgprBeta+2+1], v[vgprValuC+22:vgprValuC+22+1]
v_fma_f64 v[vgprValuC+22:vgprValuC+22+1], v[18:19], s[sgprBeta+0:sgprBeta+0+1], v[vgprValuC+22:vgprValuC+22+1]
_buffer_store_b128 v[20:23], v7, s[sgprSrdD:sgprSrdD+3], 0, offen, offset:0,  nt // store D
s_nop 0                                            // 1 wait state required when next inst writes vgprs held by previous dwordx4 store inst
/* optSingleColVgpr=0 optSharedColVgpr=0 optSGPRUsage=BufferLoad_Edge_Mask optSrdIncForRow=0 */
s_sleep 3 // optimization: sync and wait
s_barrier

/******************************************/
/* Global Write Alpha Beta Edge Batch #17 (d1,d0,vc1,vc0) = */
/*    (11,1,0,0:vw1); (11,2,0,0:vw1)      */
/******************************************/

/* calc coords, apply mask, and issue loads (if necessary) */
/* (d1,vc1,d0,vc0)=(11,0,1,0) */
_v_add_co_u32 v4, vcc, v0, 32                      // coord0.1: coord0 += d0*sg0*VW + vc0
v_cmp_lt_u32 s[60:61], v4, s[sgprSizeI]            // coord0 < size0
v_cmp_lt_u32 s[64:65], v1, s[sgprSizeJ]            // coord1 < size1
s_and_b64 s[64:65], s[60:61], s[64:65]             // in0 && in1
_v_add_lshl_u32 v6, v2, v4, 0x4                    // scaleToBpe: accumulate d0 lower and *= bpe into Cin addr
v_cndmask_b32 v6, -1, v6, s[64:65]                 // LDC clip if OOB. offset
_buffer_load_b128 v[8:11], v6, s[sgprSrdC:sgprSrdC+3], 0, offen offset:0,  nt // load C for beta calc
_v_add_lshl_u32 v6, v3, v4, 0x4                    // scaleToBpe: accumulate d0 lower and *= bpe into Cin addr
v_cndmask_b32 v6, -1, v6, s[64:65]                 // LDD clip if OOB. offset
/* (d1,vc1,d0,vc0)=(11,0,2,0) */
_v_add_co_u32 v4, vcc, v0, 64                      // coord0.1: coord0 += d0*sg0*VW + vc0
v_cmp_lt_u32 s[60:61], v4, s[sgprSizeI]            // coord0 < size0
v_cmp_lt_u32 s[64:65], v1, s[sgprSizeJ]            // coord1 < size1
s_and_b64 s[64:65], s[60:61], s[64:65]             // in0 && in1
_v_add_lshl_u32 v7, v2, v4, 0x4                    // scaleToBpe: accumulate d0 lower and *= bpe into Cin addr
v_cndmask_b32 v7, -1, v7, s[64:65]                 // LDC clip if OOB. offset
_buffer_load_b128 v[16:19], v7, s[sgprSrdC:sgprSrdC+3], 0, offen offset:0,  nt // load C for beta calc
_v_add_lshl_u32 v7, v3, v4, 0x4                    // scaleToBpe: accumulate d0 lower and *= bpe into Cin addr
v_cndmask_b32 v7, -1, v7, s[64:65]                 // LDD clip if OOB. offset
s_sleep 3 // optimization: sync and wait
s_barrier
v_accvgpr_read_b32 v[vgprValuC+12], acc62 // copy acc to vreg[136]
v_accvgpr_read_b32 v[vgprValuC+13], acc63 // copy acc to vreg[137]
v_accvgpr_read_b32 v[vgprValuC+14], acc158 // copy acc to vreg[138]
v_accvgpr_read_b32 v[vgprValuC+15], acc159 // copy acc to vreg[139]
v_accvgpr_read_b32 v[vgprValuC+20], acc70 // copy acc to vreg[140]
v_accvgpr_read_b32 v[vgprValuC+21], acc71 // copy acc to vreg[141]
v_accvgpr_read_b32 v[vgprValuC+22], acc166 // copy acc to vreg[142]
v_accvgpr_read_b32 v[vgprValuC+23], acc167 // copy acc to vreg[143]
s_nop 1                                            // 2 wait states required before reading vgpr

/* rC *= alpha batchElements=[(11, 1, 0, 0), (11, 2, 0, 0)] */
v_mul_f64 v[24:25], s[sgprAlpha+0:sgprAlpha+0+1], v[vgprValuC+12:vgprValuC+12+1] // 
v_mul_f64 v[26:27], s[sgprAlpha+2:sgprAlpha+2+1], v[vgprValuC+12:vgprValuC+12+1] // 
v_fma_f64 v[vgprValuC+12:vgprValuC+12+1], s[sgprAlpha+2:sgprAlpha+2+1], -v[vgprValuC+14:vgprValuC+14+1], v[24:25]
v_fma_f64 v[vgprValuC+14:vgprValuC+14+1], s[sgprAlpha+0:sgprAlpha+0+1], v[vgprValuC+14:vgprValuC+14+1], v[26:27]
v_mul_f64 v[24:25], s[sgprAlpha+0:sgprAlpha+0+1], v[vgprValuC+20:vgprValuC+20+1] // 
v_mul_f64 v[26:27], s[sgprAlpha+2:sgprAlpha+2+1], v[vgprValuC+20:vgprValuC+20+1] // 
v_fma_f64 v[vgprValuC+20:vgprValuC+20+1], s[sgprAlpha+2:sgprAlpha+2+1], -v[vgprValuC+22:vgprValuC+22+1], v[24:25]
v_fma_f64 v[vgprValuC+22:vgprValuC+22+1], s[sgprAlpha+0:sgprAlpha+0+1], v[vgprValuC+22:vgprValuC+22+1], v[26:27]
s_waitcnt vmcnt(0)                                 // wait C

/* apply mask, calc new C and issue writes */
v_fma_f64 v[vgprValuC+12:vgprValuC+12+1], v[8:9], s[sgprBeta+0:sgprBeta+0+1], v[vgprValuC+12:vgprValuC+12+1]
v_fma_f64 v[vgprValuC+12:vgprValuC+12+1], v[10:11], -s[sgprBeta+2:sgprBeta+2+1], v[vgprValuC+12:vgprValuC+12+1]
v_fma_f64 v[vgprValuC+14:vgprValuC+14+1], v[8:9], s[sgprBeta+2:sgprBeta+2+1], v[vgprValuC+14:vgprValuC+14+1]
v_fma_f64 v[vgprValuC+14:vgprValuC+14+1], v[10:11], s[sgprBeta+0:sgprBeta+0+1], v[vgprValuC+14:vgprValuC+14+1]
_buffer_store_b128 v[12:15], v6, s[sgprSrdD:sgprSrdD+3], 0, offen, offset:0,  nt // store D
v_fma_f64 v[vgprValuC+20:vgprValuC+20+1], v[16:17], s[sgprBeta+0:sgprBeta+0+1], v[vgprValuC+20:vgprValuC+20+1]
v_fma_f64 v[vgprValuC+20:vgprValuC+20+1], v[18:19], -s[sgprBeta+2:sgprBeta+2+1], v[vgprValuC+20:vgprValuC+20+1]
v_fma_f64 v[vgprValuC+22:vgprValuC+22+1], v[16:17], s[sgprBeta+2:sgprBeta+2+1], v[vgprValuC+22:vgprValuC+22+1]
v_fma_f64 v[vgprValuC+22:vgprValuC+22+1], v[18:19], s[sgprBeta+0:sgprBeta+0+1], v[vgprValuC+22:vgprValuC+22+1]
_buffer_store_b128 v[20:23], v7, s[sgprSrdD:sgprSrdD+3], 0, offen, offset:0,  nt // store D
s_nop 0                                            // 1 wait state required when next inst writes vgprs held by previous dwordx4 store inst
/* optSingleColVgpr=0 optSharedColVgpr=0 optSGPRUsage=BufferLoad_Edge_Mask optSrdIncForRow=0 */
s_sleep 3 // optimization: sync and wait
s_barrier

/******************************************/
/* Global Write Alpha Beta Edge Batch #18 (d1,d0,vc1,vc0) = */
/*    (12,0,0,0:vw1); (12,1,0,0:vw1)      */
/******************************************/

/* calc coords, apply mask, and issue loads (if necessary) */
/* (d1,vc1,d0,vc0)=(12,0,0,0) */
_v_add_co_u32 v1, vcc, v1, 20                      // coord1.1: coord1Vgpr += d1*sg1*VW + vc1

/* Fix for UseInitialStridesCD, emitAddressSetupCode */
s_mul_i32 s60, s[sgprStrideC1J], 20                // scale stride
_v_add_u32 v2, v2, s60                             // ROWINC- Move cinRowPtr to next row
s_mul_i32 s60, s[sgprStrideD1J], 20                // scale stride
_v_add_u32 v3, v3, s60                             // Move coutRowPtr to next row
v_cmp_lt_u32 s[60:61], v0, s[sgprSizeI]            // coord0 < size0
v_cmp_lt_u32 s[64:65], v1, s[sgprSizeJ]            // coord1 < size1
s_and_b64 s[64:65], s[60:61], s[64:65]             // in0 && in1
_v_add_lshl_u32 v6, v2, v0, 0x4                    // scaleToBpe: accumulate d0 lower and *= bpe into Cin addr
v_cndmask_b32 v6, -1, v6, s[64:65]                 // LDC clip if OOB. offset
_buffer_load_b128 v[8:11], v6, s[sgprSrdC:sgprSrdC+3], 0, offen offset:0,  nt // load C for beta calc
_v_add_lshl_u32 v6, v3, v0, 0x4                    // scaleToBpe: accumulate d0 lower and *= bpe into Cin addr
v_cndmask_b32 v6, -1, v6, s[64:65]                 // LDD clip if OOB. offset
/* (d1,vc1,d0,vc0)=(12,0,1,0) */
_v_add_co_u32 v4, vcc, v0, 32                      // coord0.1: coord0 += d0*sg0*VW + vc0
v_cmp_lt_u32 s[60:61], v4, s[sgprSizeI]            // coord0 < size0
v_cmp_lt_u32 s[64:65], v1, s[sgprSizeJ]            // coord1 < size1
s_and_b64 s[64:65], s[60:61], s[64:65]             // in0 && in1
_v_add_lshl_u32 v7, v2, v4, 0x4                    // scaleToBpe: accumulate d0 lower and *= bpe into Cin addr
v_cndmask_b32 v7, -1, v7, s[64:65]                 // LDC clip if OOB. offset
_buffer_load_b128 v[16:19], v7, s[sgprSrdC:sgprSrdC+3], 0, offen offset:0,  nt // load C for beta calc
_v_add_lshl_u32 v7, v3, v4, 0x4                    // scaleToBpe: accumulate d0 lower and *= bpe into Cin addr
v_cndmask_b32 v7, -1, v7, s[64:65]                 // LDD clip if OOB. offset
s_sleep 3 // optimization: sync and wait
s_barrier
v_accvgpr_read_b32 v[vgprValuC+12], acc72 // copy acc to vreg[144]
v_accvgpr_read_b32 v[vgprValuC+13], acc73 // copy acc to vreg[145]
v_accvgpr_read_b32 v[vgprValuC+14], acc168 // copy acc to vreg[146]
v_accvgpr_read_b32 v[vgprValuC+15], acc169 // copy acc to vreg[147]
v_accvgpr_read_b32 v[vgprValuC+20], acc80 // copy acc to vreg[148]
v_accvgpr_read_b32 v[vgprValuC+21], acc81 // copy acc to vreg[149]
v_accvgpr_read_b32 v[vgprValuC+22], acc176 // copy acc to vreg[150]
v_accvgpr_read_b32 v[vgprValuC+23], acc177 // copy acc to vreg[151]
s_nop 1                                            // 2 wait states required before reading vgpr

/* rC *= alpha batchElements=[(12, 0, 0, 0), (12, 1, 0, 0)] */
v_mul_f64 v[24:25], s[sgprAlpha+0:sgprAlpha+0+1], v[vgprValuC+12:vgprValuC+12+1] // 
v_mul_f64 v[26:27], s[sgprAlpha+2:sgprAlpha+2+1], v[vgprValuC+12:vgprValuC+12+1] // 
v_fma_f64 v[vgprValuC+12:vgprValuC+12+1], s[sgprAlpha+2:sgprAlpha+2+1], -v[vgprValuC+14:vgprValuC+14+1], v[24:25]
v_fma_f64 v[vgprValuC+14:vgprValuC+14+1], s[sgprAlpha+0:sgprAlpha+0+1], v[vgprValuC+14:vgprValuC+14+1], v[26:27]
v_mul_f64 v[24:25], s[sgprAlpha+0:sgprAlpha+0+1], v[vgprValuC+20:vgprValuC+20+1] // 
v_mul_f64 v[26:27], s[sgprAlpha+2:sgprAlpha+2+1], v[vgprValuC+20:vgprValuC+20+1] // 
v_fma_f64 v[vgprValuC+20:vgprValuC+20+1], s[sgprAlpha+2:sgprAlpha+2+1], -v[vgprValuC+22:vgprValuC+22+1], v[24:25]
v_fma_f64 v[vgprValuC+22:vgprValuC+22+1], s[sgprAlpha+0:sgprAlpha+0+1], v[vgprValuC+22:vgprValuC+22+1], v[26:27]
s_waitcnt vmcnt(0)                                 // wait C

/* apply mask, calc new C and issue writes */
v_fma_f64 v[vgprValuC+12:vgprValuC+12+1], v[8:9], s[sgprBeta+0:sgprBeta+0+1], v[vgprValuC+12:vgprValuC+12+1]
v_fma_f64 v[vgprValuC+12:vgprValuC+12+1], v[10:11], -s[sgprBeta+2:sgprBeta+2+1], v[vgprValuC+12:vgprValuC+12+1]
v_fma_f64 v[vgprValuC+14:vgprValuC+14+1], v[8:9], s[sgprBeta+2:sgprBeta+2+1], v[vgprValuC+14:vgprValuC+14+1]
v_fma_f64 v[vgprValuC+14:vgprValuC+14+1], v[10:11], s[sgprBeta+0:sgprBeta+0+1], v[vgprValuC+14:vgprValuC+14+1]
_buffer_store_b128 v[12:15], v6, s[sgprSrdD:sgprSrdD+3], 0, offen, offset:0,  nt // store D
v_fma_f64 v[vgprValuC+20:vgprValuC+20+1], v[16:17], s[sgprBeta+0:sgprBeta+0+1], v[vgprValuC+20:vgprValuC+20+1]
v_fma_f64 v[vgprValuC+20:vgprValuC+20+1], v[18:19], -s[sgprBeta+2:sgprBeta+2+1], v[vgprValuC+20:vgprValuC+20+1]
v_fma_f64 v[vgprValuC+22:vgprValuC+22+1], v[16:17], s[sgprBeta+2:sgprBeta+2+1], v[vgprValuC+22:vgprValuC+22+1]
v_fma_f64 v[vgprValuC+22:vgprValuC+22+1], v[18:19], s[sgprBeta+0:sgprBeta+0+1], v[vgprValuC+22:vgprValuC+22+1]
_buffer_store_b128 v[20:23], v7, s[sgprSrdD:sgprSrdD+3], 0, offen, offset:0,  nt // store D
s_nop 0                                            // 1 wait state required when next inst writes vgprs held by previous dwordx4 store inst
/* optSingleColVgpr=0 optSharedColVgpr=0 optSGPRUsage=BufferLoad_Edge_Mask optSrdIncForRow=0 */
s_sleep 3 // optimization: sync and wait
s_barrier

/******************************************/
/* Global Write Alpha Beta Edge Batch #19 (d1,d0,vc1,vc0) = */
/*    (12,2,0,0:vw1); (13,0,0,0:vw1)      */
/******************************************/

/* calc coords, apply mask, and issue loads (if necessary) */
/* (d1,vc1,d0,vc0)=(12,0,2,0) */
_v_add_co_u32 v4, vcc, v0, 64                      // coord0.1: coord0 += d0*sg0*VW + vc0
v_cmp_lt_u32 s[60:61], v4, s[sgprSizeI]            // coord0 < size0
v_cmp_lt_u32 s[64:65], v1, s[sgprSizeJ]            // coord1 < size1
s_and_b64 s[64:65], s[60:61], s[64:65]             // in0 && in1
_v_add_lshl_u32 v6, v2, v4, 0x4                    // scaleToBpe: accumulate d0 lower and *= bpe into Cin addr
v_cndmask_b32 v6, -1, v6, s[64:65]                 // LDC clip if OOB. offset
_buffer_load_b128 v[8:11], v6, s[sgprSrdC:sgprSrdC+3], 0, offen offset:0,  nt // load C for beta calc
_v_add_lshl_u32 v6, v3, v4, 0x4                    // scaleToBpe: accumulate d0 lower and *= bpe into Cin addr
v_cndmask_b32 v6, -1, v6, s[64:65]                 // LDD clip if OOB. offset
/* (d1,vc1,d0,vc0)=(13,0,0,0) */
_v_add_co_u32 v1, vcc, v1, 4                       // coord1.1: coord1Vgpr += d1*sg1*VW + vc1

/* Fix for UseInitialStridesCD, emitAddressSetupCode */
s_mul_i32 s60, s[sgprStrideC1J], 4                 // scale stride
_v_add_u32 v2, v2, s60                             // ROWINC- Move cinRowPtr to next row
s_mul_i32 s60, s[sgprStrideD1J], 4                 // scale stride
_v_add_u32 v3, v3, s60                             // Move coutRowPtr to next row
v_cmp_lt_u32 s[60:61], v0, s[sgprSizeI]            // coord0 < size0
v_cmp_lt_u32 s[64:65], v1, s[sgprSizeJ]            // coord1 < size1
s_and_b64 s[64:65], s[60:61], s[64:65]             // in0 && in1
_v_add_lshl_u32 v7, v2, v0, 0x4                    // scaleToBpe: accumulate d0 lower and *= bpe into Cin addr
v_cndmask_b32 v7, -1, v7, s[64:65]                 // LDC clip if OOB. offset
_buffer_load_b128 v[16:19], v7, s[sgprSrdC:sgprSrdC+3], 0, offen offset:0,  nt // load C for beta calc
_v_add_lshl_u32 v7, v3, v0, 0x4                    // scaleToBpe: accumulate d0 lower and *= bpe into Cin addr
v_cndmask_b32 v7, -1, v7, s[64:65]                 // LDD clip if OOB. offset
s_sleep 3 // optimization: sync and wait
s_barrier
v_accvgpr_read_b32 v[vgprValuC+12], acc88 // copy acc to vreg[152]
v_accvgpr_read_b32 v[vgprValuC+13], acc89 // copy acc to vreg[153]
v_accvgpr_read_b32 v[vgprValuC+14], acc184 // copy acc to vreg[154]
v_accvgpr_read_b32 v[vgprValuC+15], acc185 // copy acc to vreg[155]
v_accvgpr_read_b32 v[vgprValuC+20], acc74 // copy acc to vreg[156]
v_accvgpr_read_b32 v[vgprValuC+21], acc75 // copy acc to vreg[157]
v_accvgpr_read_b32 v[vgprValuC+22], acc170 // copy acc to vreg[158]
v_accvgpr_read_b32 v[vgprValuC+23], acc171 // copy acc to vreg[159]
s_nop 1                                            // 2 wait states required before reading vgpr

/* rC *= alpha batchElements=[(12, 2, 0, 0), (13, 0, 0, 0)] */
v_mul_f64 v[24:25], s[sgprAlpha+0:sgprAlpha+0+1], v[vgprValuC+12:vgprValuC+12+1] // 
v_mul_f64 v[26:27], s[sgprAlpha+2:sgprAlpha+2+1], v[vgprValuC+12:vgprValuC+12+1] // 
v_fma_f64 v[vgprValuC+12:vgprValuC+12+1], s[sgprAlpha+2:sgprAlpha+2+1], -v[vgprValuC+14:vgprValuC+14+1], v[24:25]
v_fma_f64 v[vgprValuC+14:vgprValuC+14+1], s[sgprAlpha+0:sgprAlpha+0+1], v[vgprValuC+14:vgprValuC+14+1], v[26:27]
v_mul_f64 v[24:25], s[sgprAlpha+0:sgprAlpha+0+1], v[vgprValuC+20:vgprValuC+20+1] // 
v_mul_f64 v[26:27], s[sgprAlpha+2:sgprAlpha+2+1], v[vgprValuC+20:vgprValuC+20+1] // 
v_fma_f64 v[vgprValuC+20:vgprValuC+20+1], s[sgprAlpha+2:sgprAlpha+2+1], -v[vgprValuC+22:vgprValuC+22+1], v[24:25]
v_fma_f64 v[vgprValuC+22:vgprValuC+22+1], s[sgprAlpha+0:sgprAlpha+0+1], v[vgprValuC+22:vgprValuC+22+1], v[26:27]
s_waitcnt vmcnt(0)                                 // wait C

/* apply mask, calc new C and issue writes */
v_fma_f64 v[vgprValuC+12:vgprValuC+12+1], v[8:9], s[sgprBeta+0:sgprBeta+0+1], v[vgprValuC+12:vgprValuC+12+1]
v_fma_f64 v[vgprValuC+12:vgprValuC+12+1], v[10:11], -s[sgprBeta+2:sgprBeta+2+1], v[vgprValuC+12:vgprValuC+12+1]
v_fma_f64 v[vgprValuC+14:vgprValuC+14+1], v[8:9], s[sgprBeta+2:sgprBeta+2+1], v[vgprValuC+14:vgprValuC+14+1]
v_fma_f64 v[vgprValuC+14:vgprValuC+14+1], v[10:11], s[sgprBeta+0:sgprBeta+0+1], v[vgprValuC+14:vgprValuC+14+1]
_buffer_store_b128 v[12:15], v6, s[sgprSrdD:sgprSrdD+3], 0, offen, offset:0,  nt // store D
v_fma_f64 v[vgprValuC+20:vgprValuC+20+1], v[16:17], s[sgprBeta+0:sgprBeta+0+1], v[vgprValuC+20:vgprValuC+20+1]
v_fma_f64 v[vgprValuC+20:vgprValuC+20+1], v[18:19], -s[sgprBeta+2:sgprBeta+2+1], v[vgprValuC+20:vgprValuC+20+1]
v_fma_f64 v[vgprValuC+22:vgprValuC+22+1], v[16:17], s[sgprBeta+2:sgprBeta+2+1], v[vgprValuC+22:vgprValuC+22+1]
v_fma_f64 v[vgprValuC+22:vgprValuC+22+1], v[18:19], s[sgprBeta+0:sgprBeta+0+1], v[vgprValuC+22:vgprValuC+22+1]
_buffer_store_b128 v[20:23], v7, s[sgprSrdD:sgprSrdD+3], 0, offen, offset:0,  nt // store D
s_nop 0                                            // 1 wait state required when next inst writes vgprs held by previous dwordx4 store inst
/* optSingleColVgpr=0 optSharedColVgpr=0 optSGPRUsage=BufferLoad_Edge_Mask optSrdIncForRow=0 */
s_sleep 3 // optimization: sync and wait
s_barrier

/******************************************/
/* Global Write Alpha Beta Edge Batch #20 (d1,d0,vc1,vc0) = */
/*    (13,1,0,0:vw1); (13,2,0,0:vw1)      */
/******************************************/

/* calc coords, apply mask, and issue loads (if necessary) */
/* (d1,vc1,d0,vc0)=(13,0,1,0) */
_v_add_co_u32 v4, vcc, v0, 32                      // coord0.1: coord0 += d0*sg0*VW + vc0
v_cmp_lt_u32 s[60:61], v4, s[sgprSizeI]            // coord0 < size0
v_cmp_lt_u32 s[64:65], v1, s[sgprSizeJ]            // coord1 < size1
s_and_b64 s[64:65], s[60:61], s[64:65]             // in0 && in1
_v_add_lshl_u32 v6, v2, v4, 0x4                    // scaleToBpe: accumulate d0 lower and *= bpe into Cin addr
v_cndmask_b32 v6, -1, v6, s[64:65]                 // LDC clip if OOB. offset
_buffer_load_b128 v[8:11], v6, s[sgprSrdC:sgprSrdC+3], 0, offen offset:0,  nt // load C for beta calc
_v_add_lshl_u32 v6, v3, v4, 0x4                    // scaleToBpe: accumulate d0 lower and *= bpe into Cin addr
v_cndmask_b32 v6, -1, v6, s[64:65]                 // LDD clip if OOB. offset
/* (d1,vc1,d0,vc0)=(13,0,2,0) */
_v_add_co_u32 v4, vcc, v0, 64                      // coord0.1: coord0 += d0*sg0*VW + vc0
v_cmp_lt_u32 s[60:61], v4, s[sgprSizeI]            // coord0 < size0
v_cmp_lt_u32 s[64:65], v1, s[sgprSizeJ]            // coord1 < size1
s_and_b64 s[64:65], s[60:61], s[64:65]             // in0 && in1
_v_add_lshl_u32 v7, v2, v4, 0x4                    // scaleToBpe: accumulate d0 lower and *= bpe into Cin addr
v_cndmask_b32 v7, -1, v7, s[64:65]                 // LDC clip if OOB. offset
_buffer_load_b128 v[16:19], v7, s[sgprSrdC:sgprSrdC+3], 0, offen offset:0,  nt // load C for beta calc
_v_add_lshl_u32 v7, v3, v4, 0x4                    // scaleToBpe: accumulate d0 lower and *= bpe into Cin addr
v_cndmask_b32 v7, -1, v7, s[64:65]                 // LDD clip if OOB. offset
s_sleep 3 // optimization: sync and wait
s_barrier
v_accvgpr_read_b32 v[vgprValuC+12], acc82 // copy acc to vreg[160]
v_accvgpr_read_b32 v[vgprValuC+13], acc83 // copy acc to vreg[161]
v_accvgpr_read_b32 v[vgprValuC+14], acc178 // copy acc to vreg[162]
v_accvgpr_read_b32 v[vgprValuC+15], acc179 // copy acc to vreg[163]
v_accvgpr_read_b32 v[vgprValuC+20], acc90 // copy acc to vreg[164]
v_accvgpr_read_b32 v[vgprValuC+21], acc91 // copy acc to vreg[165]
v_accvgpr_read_b32 v[vgprValuC+22], acc186 // copy acc to vreg[166]
v_accvgpr_read_b32 v[vgprValuC+23], acc187 // copy acc to vreg[167]
s_nop 1                                            // 2 wait states required before reading vgpr

/* rC *= alpha batchElements=[(13, 1, 0, 0), (13, 2, 0, 0)] */
v_mul_f64 v[24:25], s[sgprAlpha+0:sgprAlpha+0+1], v[vgprValuC+12:vgprValuC+12+1] // 
v_mul_f64 v[26:27], s[sgprAlpha+2:sgprAlpha+2+1], v[vgprValuC+12:vgprValuC+12+1] // 
v_fma_f64 v[vgprValuC+12:vgprValuC+12+1], s[sgprAlpha+2:sgprAlpha+2+1], -v[vgprValuC+14:vgprValuC+14+1], v[24:25]
v_fma_f64 v[vgprValuC+14:vgprValuC+14+1], s[sgprAlpha+0:sgprAlpha+0+1], v[vgprValuC+14:vgprValuC+14+1], v[26:27]
v_mul_f64 v[24:25], s[sgprAlpha+0:sgprAlpha+0+1], v[vgprValuC+20:vgprValuC+20+1] // 
v_mul_f64 v[26:27], s[sgprAlpha+2:sgprAlpha+2+1], v[vgprValuC+20:vgprValuC+20+1] // 
v_fma_f64 v[vgprValuC+20:vgprValuC+20+1], s[sgprAlpha+2:sgprAlpha+2+1], -v[vgprValuC+22:vgprValuC+22+1], v[24:25]
v_fma_f64 v[vgprValuC+22:vgprValuC+22+1], s[sgprAlpha+0:sgprAlpha+0+1], v[vgprValuC+22:vgprValuC+22+1], v[26:27]
s_waitcnt vmcnt(0)                                 // wait C

/* apply mask, calc new C and issue writes */
v_fma_f64 v[vgprValuC+12:vgprValuC+12+1], v[8:9], s[sgprBeta+0:sgprBeta+0+1], v[vgprValuC+12:vgprValuC+12+1]
v_fma_f64 v[vgprValuC+12:vgprValuC+12+1], v[10:11], -s[sgprBeta+2:sgprBeta+2+1], v[vgprValuC+12:vgprValuC+12+1]
v_fma_f64 v[vgprValuC+14:vgprValuC+14+1], v[8:9], s[sgprBeta+2:sgprBeta+2+1], v[vgprValuC+14:vgprValuC+14+1]
v_fma_f64 v[vgprValuC+14:vgprValuC+14+1], v[10:11], s[sgprBeta+0:sgprBeta+0+1], v[vgprValuC+14:vgprValuC+14+1]
_buffer_store_b128 v[12:15], v6, s[sgprSrdD:sgprSrdD+3], 0, offen, offset:0,  nt // store D
v_fma_f64 v[vgprValuC+20:vgprValuC+20+1], v[16:17], s[sgprBeta+0:sgprBeta+0+1], v[vgprValuC+20:vgprValuC+20+1]
v_fma_f64 v[vgprValuC+20:vgprValuC+20+1], v[18:19], -s[sgprBeta+2:sgprBeta+2+1], v[vgprValuC+20:vgprValuC+20+1]
v_fma_f64 v[vgprValuC+22:vgprValuC+22+1], v[16:17], s[sgprBeta+2:sgprBeta+2+1], v[vgprValuC+22:vgprValuC+22+1]
v_fma_f64 v[vgprValuC+22:vgprValuC+22+1], v[18:19], s[sgprBeta+0:sgprBeta+0+1], v[vgprValuC+22:vgprValuC+22+1]
_buffer_store_b128 v[20:23], v7, s[sgprSrdD:sgprSrdD+3], 0, offen, offset:0,  nt // store D
s_nop 0                                            // 1 wait state required when next inst writes vgprs held by previous dwordx4 store inst
/* optSingleColVgpr=0 optSharedColVgpr=0 optSGPRUsage=BufferLoad_Edge_Mask optSrdIncForRow=0 */
s_sleep 3 // optimization: sync and wait
s_barrier

/******************************************/
/* Global Write Alpha Beta Edge Batch #21 (d1,d0,vc1,vc0) = */
/*    (14,0,0,0:vw1); (14,1,0,0:vw1)      */
/******************************************/

/* calc coords, apply mask, and issue loads (if necessary) */
/* (d1,vc1,d0,vc0)=(14,0,0,0) */
_v_add_co_u32 v1, vcc, v1, 4                       // coord1.1: coord1Vgpr += d1*sg1*VW + vc1

/* Fix for UseInitialStridesCD, emitAddressSetupCode */
s_mul_i32 s60, s[sgprStrideC1J], 4                 // scale stride
_v_add_u32 v2, v2, s60                             // ROWINC- Move cinRowPtr to next row
s_mul_i32 s60, s[sgprStrideD1J], 4                 // scale stride
_v_add_u32 v3, v3, s60                             // Move coutRowPtr to next row
v_cmp_lt_u32 s[60:61], v0, s[sgprSizeI]            // coord0 < size0
v_cmp_lt_u32 s[64:65], v1, s[sgprSizeJ]            // coord1 < size1
s_and_b64 s[64:65], s[60:61], s[64:65]             // in0 && in1
_v_add_lshl_u32 v6, v2, v0, 0x4                    // scaleToBpe: accumulate d0 lower and *= bpe into Cin addr
v_cndmask_b32 v6, -1, v6, s[64:65]                 // LDC clip if OOB. offset
_buffer_load_b128 v[8:11], v6, s[sgprSrdC:sgprSrdC+3], 0, offen offset:0,  nt // load C for beta calc
_v_add_lshl_u32 v6, v3, v0, 0x4                    // scaleToBpe: accumulate d0 lower and *= bpe into Cin addr
v_cndmask_b32 v6, -1, v6, s[64:65]                 // LDD clip if OOB. offset
/* (d1,vc1,d0,vc0)=(14,0,1,0) */
_v_add_co_u32 v4, vcc, v0, 32                      // coord0.1: coord0 += d0*sg0*VW + vc0
v_cmp_lt_u32 s[60:61], v4, s[sgprSizeI]            // coord0 < size0
v_cmp_lt_u32 s[64:65], v1, s[sgprSizeJ]            // coord1 < size1
s_and_b64 s[64:65], s[60:61], s[64:65]             // in0 && in1
_v_add_lshl_u32 v7, v2, v4, 0x4                    // scaleToBpe: accumulate d0 lower and *= bpe into Cin addr
v_cndmask_b32 v7, -1, v7, s[64:65]                 // LDC clip if OOB. offset
_buffer_load_b128 v[16:19], v7, s[sgprSrdC:sgprSrdC+3], 0, offen offset:0,  nt // load C for beta calc
_v_add_lshl_u32 v7, v3, v4, 0x4                    // scaleToBpe: accumulate d0 lower and *= bpe into Cin addr
v_cndmask_b32 v7, -1, v7, s[64:65]                 // LDD clip if OOB. offset
s_sleep 3 // optimization: sync and wait
s_barrier
v_accvgpr_read_b32 v[vgprValuC+12], acc76 // copy acc to vreg[168]
v_accvgpr_read_b32 v[vgprValuC+13], acc77 // copy acc to vreg[169]
v_accvgpr_read_b32 v[vgprValuC+14], acc172 // copy acc to vreg[170]
v_accvgpr_read_b32 v[vgprValuC+15], acc173 // copy acc to vreg[171]
v_accvgpr_read_b32 v[vgprValuC+20], acc84 // copy acc to vreg[172]
v_accvgpr_read_b32 v[vgprValuC+21], acc85 // copy acc to vreg[173]
v_accvgpr_read_b32 v[vgprValuC+22], acc180 // copy acc to vreg[174]
v_accvgpr_read_b32 v[vgprValuC+23], acc181 // copy acc to vreg[175]
s_nop 1                                            // 2 wait states required before reading vgpr

/* rC *= alpha batchElements=[(14, 0, 0, 0), (14, 1, 0, 0)] */
v_mul_f64 v[24:25], s[sgprAlpha+0:sgprAlpha+0+1], v[vgprValuC+12:vgprValuC+12+1] // 
v_mul_f64 v[26:27], s[sgprAlpha+2:sgprAlpha+2+1], v[vgprValuC+12:vgprValuC+12+1] // 
v_fma_f64 v[vgprValuC+12:vgprValuC+12+1], s[sgprAlpha+2:sgprAlpha+2+1], -v[vgprValuC+14:vgprValuC+14+1], v[24:25]
v_fma_f64 v[vgprValuC+14:vgprValuC+14+1], s[sgprAlpha+0:sgprAlpha+0+1], v[vgprValuC+14:vgprValuC+14+1], v[26:27]
v_mul_f64 v[24:25], s[sgprAlpha+0:sgprAlpha+0+1], v[vgprValuC+20:vgprValuC+20+1] // 
v_mul_f64 v[26:27], s[sgprAlpha+2:sgprAlpha+2+1], v[vgprValuC+20:vgprValuC+20+1] // 
v_fma_f64 v[vgprValuC+20:vgprValuC+20+1], s[sgprAlpha+2:sgprAlpha+2+1], -v[vgprValuC+22:vgprValuC+22+1], v[24:25]
v_fma_f64 v[vgprValuC+22:vgprValuC+22+1], s[sgprAlpha+0:sgprAlpha+0+1], v[vgprValuC+22:vgprValuC+22+1], v[26:27]
s_waitcnt vmcnt(0)                                 // wait C

/* apply mask, calc new C and issue writes */
v_fma_f64 v[vgprValuC+12:vgprValuC+12+1], v[8:9], s[sgprBeta+0:sgprBeta+0+1], v[vgprValuC+12:vgprValuC+12+1]
v_fma_f64 v[vgprValuC+12:vgprValuC+12+1], v[10:11], -s[sgprBeta+2:sgprBeta+2+1], v[vgprValuC+12:vgprValuC+12+1]
v_fma_f64 v[vgprValuC+14:vgprValuC+14+1], v[8:9], s[sgprBeta+2:sgprBeta+2+1], v[vgprValuC+14:vgprValuC+14+1]
v_fma_f64 v[vgprValuC+14:vgprValuC+14+1], v[10:11], s[sgprBeta+0:sgprBeta+0+1], v[vgprValuC+14:vgprValuC+14+1]
_buffer_store_b128 v[12:15], v6, s[sgprSrdD:sgprSrdD+3], 0, offen, offset:0,  nt // store D
v_fma_f64 v[vgprValuC+20:vgprValuC+20+1], v[16:17], s[sgprBeta+0:sgprBeta+0+1], v[vgprValuC+20:vgprValuC+20+1]
v_fma_f64 v[vgprValuC+20:vgprValuC+20+1], v[18:19], -s[sgprBeta+2:sgprBeta+2+1], v[vgprValuC+20:vgprValuC+20+1]
v_fma_f64 v[vgprValuC+22:vgprValuC+22+1], v[16:17], s[sgprBeta+2:sgprBeta+2+1], v[vgprValuC+22:vgprValuC+22+1]
v_fma_f64 v[vgprValuC+22:vgprValuC+22+1], v[18:19], s[sgprBeta+0:sgprBeta+0+1], v[vgprValuC+22:vgprValuC+22+1]
_buffer_store_b128 v[20:23], v7, s[sgprSrdD:sgprSrdD+3], 0, offen, offset:0,  nt // store D
s_nop 0                                            // 1 wait state required when next inst writes vgprs held by previous dwordx4 store inst
/* optSingleColVgpr=0 optSharedColVgpr=0 optSGPRUsage=BufferLoad_Edge_Mask optSrdIncForRow=0 */
s_sleep 3 // optimization: sync and wait
s_barrier

/******************************************/
/* Global Write Alpha Beta Edge Batch #22 (d1,d0,vc1,vc0) = */
/*    (14,2,0,0:vw1); (15,0,0,0:vw1)      */
/******************************************/

/* calc coords, apply mask, and issue loads (if necessary) */
/* (d1,vc1,d0,vc0)=(14,0,2,0) */
_v_add_co_u32 v4, vcc, v0, 64                      // coord0.1: coord0 += d0*sg0*VW + vc0
v_cmp_lt_u32 s[60:61], v4, s[sgprSizeI]            // coord0 < size0
v_cmp_lt_u32 s[64:65], v1, s[sgprSizeJ]            // coord1 < size1
s_and_b64 s[64:65], s[60:61], s[64:65]             // in0 && in1
_v_add_lshl_u32 v6, v2, v4, 0x4                    // scaleToBpe: accumulate d0 lower and *= bpe into Cin addr
v_cndmask_b32 v6, -1, v6, s[64:65]                 // LDC clip if OOB. offset
_buffer_load_b128 v[8:11], v6, s[sgprSrdC:sgprSrdC+3], 0, offen offset:0,  nt // load C for beta calc
_v_add_lshl_u32 v6, v3, v4, 0x4                    // scaleToBpe: accumulate d0 lower and *= bpe into Cin addr
v_cndmask_b32 v6, -1, v6, s[64:65]                 // LDD clip if OOB. offset
/* (d1,vc1,d0,vc0)=(15,0,0,0) */
_v_add_co_u32 v1, vcc, v1, 4                       // coord1.1: coord1Vgpr += d1*sg1*VW + vc1

/* Fix for UseInitialStridesCD, emitAddressSetupCode */
s_mul_i32 s60, s[sgprStrideC1J], 4                 // scale stride
_v_add_u32 v2, v2, s60                             // ROWINC- Move cinRowPtr to next row
s_mul_i32 s60, s[sgprStrideD1J], 4                 // scale stride
_v_add_u32 v3, v3, s60                             // Move coutRowPtr to next row
v_cmp_lt_u32 s[60:61], v0, s[sgprSizeI]            // coord0 < size0
v_cmp_lt_u32 s[64:65], v1, s[sgprSizeJ]            // coord1 < size1
s_and_b64 s[64:65], s[60:61], s[64:65]             // in0 && in1
_v_add_lshl_u32 v7, v2, v0, 0x4                    // scaleToBpe: accumulate d0 lower and *= bpe into Cin addr
v_cndmask_b32 v7, -1, v7, s[64:65]                 // LDC clip if OOB. offset
_buffer_load_b128 v[16:19], v7, s[sgprSrdC:sgprSrdC+3], 0, offen offset:0,  nt // load C for beta calc
_v_add_lshl_u32 v7, v3, v0, 0x4                    // scaleToBpe: accumulate d0 lower and *= bpe into Cin addr
v_cndmask_b32 v7, -1, v7, s[64:65]                 // LDD clip if OOB. offset
s_sleep 3 // optimization: sync and wait
s_barrier
v_accvgpr_read_b32 v[vgprValuC+12], acc92 // copy acc to vreg[176]
v_accvgpr_read_b32 v[vgprValuC+13], acc93 // copy acc to vreg[177]
v_accvgpr_read_b32 v[vgprValuC+14], acc188 // copy acc to vreg[178]
v_accvgpr_read_b32 v[vgprValuC+15], acc189 // copy acc to vreg[179]
v_accvgpr_read_b32 v[vgprValuC+20], acc78 // copy acc to vreg[180]
v_accvgpr_read_b32 v[vgprValuC+21], acc79 // copy acc to vreg[181]
v_accvgpr_read_b32 v[vgprValuC+22], acc174 // copy acc to vreg[182]
v_accvgpr_read_b32 v[vgprValuC+23], acc175 // copy acc to vreg[183]
s_nop 1                                            // 2 wait states required before reading vgpr

/* rC *= alpha batchElements=[(14, 2, 0, 0), (15, 0, 0, 0)] */
v_mul_f64 v[24:25], s[sgprAlpha+0:sgprAlpha+0+1], v[vgprValuC+12:vgprValuC+12+1] // 
v_mul_f64 v[26:27], s[sgprAlpha+2:sgprAlpha+2+1], v[vgprValuC+12:vgprValuC+12+1] // 
v_fma_f64 v[vgprValuC+12:vgprValuC+12+1], s[sgprAlpha+2:sgprAlpha+2+1], -v[vgprValuC+14:vgprValuC+14+1], v[24:25]
v_fma_f64 v[vgprValuC+14:vgprValuC+14+1], s[sgprAlpha+0:sgprAlpha+0+1], v[vgprValuC+14:vgprValuC+14+1], v[26:27]
v_mul_f64 v[24:25], s[sgprAlpha+0:sgprAlpha+0+1], v[vgprValuC+20:vgprValuC+20+1] // 
v_mul_f64 v[26:27], s[sgprAlpha+2:sgprAlpha+2+1], v[vgprValuC+20:vgprValuC+20+1] // 
v_fma_f64 v[vgprValuC+20:vgprValuC+20+1], s[sgprAlpha+2:sgprAlpha+2+1], -v[vgprValuC+22:vgprValuC+22+1], v[24:25]
v_fma_f64 v[vgprValuC+22:vgprValuC+22+1], s[sgprAlpha+0:sgprAlpha+0+1], v[vgprValuC+22:vgprValuC+22+1], v[26:27]
s_waitcnt vmcnt(0)                                 // wait C

/* apply mask, calc new C and issue writes */
v_fma_f64 v[vgprValuC+12:vgprValuC+12+1], v[8:9], s[sgprBeta+0:sgprBeta+0+1], v[vgprValuC+12:vgprValuC+12+1]
v_fma_f64 v[vgprValuC+12:vgprValuC+12+1], v[10:11], -s[sgprBeta+2:sgprBeta+2+1], v[vgprValuC+12:vgprValuC+12+1]
v_fma_f64 v[vgprValuC+14:vgprValuC+14+1], v[8:9], s[sgprBeta+2:sgprBeta+2+1], v[vgprValuC+14:vgprValuC+14+1]
v_fma_f64 v[vgprValuC+14:vgprValuC+14+1], v[10:11], s[sgprBeta+0:sgprBeta+0+1], v[vgprValuC+14:vgprValuC+14+1]
_buffer_store_b128 v[12:15], v6, s[sgprSrdD:sgprSrdD+3], 0, offen, offset:0,  nt // store D
v_fma_f64 v[vgprValuC+20:vgprValuC+20+1], v[16:17], s[sgprBeta+0:sgprBeta+0+1], v[vgprValuC+20:vgprValuC+20+1]
v_fma_f64 v[vgprValuC+20:vgprValuC+20+1], v[18:19], -s[sgprBeta+2:sgprBeta+2+1], v[vgprValuC+20:vgprValuC+20+1]
v_fma_f64 v[vgprValuC+22:vgprValuC+22+1], v[16:17], s[sgprBeta+2:sgprBeta+2+1], v[vgprValuC+22:vgprValuC+22+1]
v_fma_f64 v[vgprValuC+22:vgprValuC+22+1], v[18:19], s[sgprBeta+0:sgprBeta+0+1], v[vgprValuC+22:vgprValuC+22+1]
_buffer_store_b128 v[20:23], v7, s[sgprSrdD:sgprSrdD+3], 0, offen, offset:0,  nt // store D
s_nop 0                                            // 1 wait state required when next inst writes vgprs held by previous dwordx4 store inst
/* optSingleColVgpr=0 optSharedColVgpr=0 optSGPRUsage=BufferLoad_Edge_Mask optSrdIncForRow=0 */
s_sleep 3 // optimization: sync and wait
s_barrier

/******************************************/
/* Global Write Alpha Beta Edge Batch #23 (d1,d0,vc1,vc0) = */
/*    (15,1,0,0:vw1); (15,2,0,0:vw1)      */
/******************************************/

/* calc coords, apply mask, and issue loads (if necessary) */
/* (d1,vc1,d0,vc0)=(15,0,1,0) */
_v_add_co_u32 v4, vcc, v0, 32                      // coord0.1: coord0 += d0*sg0*VW + vc0
v_cmp_lt_u32 s[60:61], v4, s[sgprSizeI]            // coord0 < size0
v_cmp_lt_u32 s[64:65], v1, s[sgprSizeJ]            // coord1 < size1
s_and_b64 s[64:65], s[60:61], s[64:65]             // in0 && in1
_v_add_lshl_u32 v6, v2, v4, 0x4                    // scaleToBpe: accumulate d0 lower and *= bpe into Cin addr
v_cndmask_b32 v6, -1, v6, s[64:65]                 // LDC clip if OOB. offset
_buffer_load_b128 v[8:11], v6, s[sgprSrdC:sgprSrdC+3], 0, offen offset:0,  nt // load C for beta calc
_v_add_lshl_u32 v6, v3, v4, 0x4                    // scaleToBpe: accumulate d0 lower and *= bpe into Cin addr
v_cndmask_b32 v6, -1, v6, s[64:65]                 // LDD clip if OOB. offset
/* (d1,vc1,d0,vc0)=(15,0,2,0) */
_v_add_co_u32 v4, vcc, v0, 64                      // coord0.1: coord0 += d0*sg0*VW + vc0
v_cmp_lt_u32 s[60:61], v4, s[sgprSizeI]            // coord0 < size0
v_cmp_lt_u32 s[64:65], v1, s[sgprSizeJ]            // coord1 < size1
s_and_b64 s[64:65], s[60:61], s[64:65]             // in0 && in1
_v_add_lshl_u32 v7, v2, v4, 0x4                    // scaleToBpe: accumulate d0 lower and *= bpe into Cin addr
v_cndmask_b32 v7, -1, v7, s[64:65]                 // LDC clip if OOB. offset
_buffer_load_b128 v[16:19], v7, s[sgprSrdC:sgprSrdC+3], 0, offen offset:0,  nt // load C for beta calc
_v_add_lshl_u32 v7, v3, v4, 0x4                    // scaleToBpe: accumulate d0 lower and *= bpe into Cin addr
v_cndmask_b32 v7, -1, v7, s[64:65]                 // LDD clip if OOB. offset
s_sleep 3 // optimization: sync and wait
s_barrier
v_accvgpr_read_b32 v[vgprValuC+12], acc86 // copy acc to vreg[184]
v_accvgpr_read_b32 v[vgprValuC+13], acc87 // copy acc to vreg[185]
v_accvgpr_read_b32 v[vgprValuC+14], acc182 // copy acc to vreg[186]
v_accvgpr_read_b32 v[vgprValuC+15], acc183 // copy acc to vreg[187]
v_accvgpr_read_b32 v[vgprValuC+20], acc94 // copy acc to vreg[188]
v_accvgpr_read_b32 v[vgprValuC+21], acc95 // copy acc to vreg[189]
v_accvgpr_read_b32 v[vgprValuC+22], acc190 // copy acc to vreg[190]
v_accvgpr_read_b32 v[vgprValuC+23], acc191 // copy acc to vreg[191]
s_nop 1                                            // 2 wait states required before reading vgpr

/* rC *= alpha batchElements=[(15, 1, 0, 0), (15, 2, 0, 0)] */
v_mul_f64 v[24:25], s[sgprAlpha+0:sgprAlpha+0+1], v[vgprValuC+12:vgprValuC+12+1] // 
v_mul_f64 v[26:27], s[sgprAlpha+2:sgprAlpha+2+1], v[vgprValuC+12:vgprValuC+12+1] // 
v_fma_f64 v[vgprValuC+12:vgprValuC+12+1], s[sgprAlpha+2:sgprAlpha+2+1], -v[vgprValuC+14:vgprValuC+14+1], v[24:25]
v_fma_f64 v[vgprValuC+14:vgprValuC+14+1], s[sgprAlpha+0:sgprAlpha+0+1], v[vgprValuC+14:vgprValuC+14+1], v[26:27]
v_mul_f64 v[24:25], s[sgprAlpha+0:sgprAlpha+0+1], v[vgprValuC+20:vgprValuC+20+1] // 
v_mul_f64 v[26:27], s[sgprAlpha+2:sgprAlpha+2+1], v[vgprValuC+20:vgprValuC+20+1] // 
v_fma_f64 v[vgprValuC+20:vgprValuC+20+1], s[sgprAlpha+2:sgprAlpha+2+1], -v[vgprValuC+22:vgprValuC+22+1], v[24:25]
v_fma_f64 v[vgprValuC+22:vgprValuC+22+1], s[sgprAlpha+0:sgprAlpha+0+1], v[vgprValuC+22:vgprValuC+22+1], v[26:27]
s_waitcnt vmcnt(0)                                 // wait C

/* apply mask, calc new C and issue writes */
v_fma_f64 v[vgprValuC+12:vgprValuC+12+1], v[8:9], s[sgprBeta+0:sgprBeta+0+1], v[vgprValuC+12:vgprValuC+12+1]
v_fma_f64 v[vgprValuC+12:vgprValuC+12+1], v[10:11], -s[sgprBeta+2:sgprBeta+2+1], v[vgprValuC+12:vgprValuC+12+1]
v_fma_f64 v[vgprValuC+14:vgprValuC+14+1], v[8:9], s[sgprBeta+2:sgprBeta+2+1], v[vgprValuC+14:vgprValuC+14+1]
v_fma_f64 v[vgprValuC+14:vgprValuC+14+1], v[10:11], s[sgprBeta+0:sgprBeta+0+1], v[vgprValuC+14:vgprValuC+14+1]
_buffer_store_b128 v[12:15], v6, s[sgprSrdD:sgprSrdD+3], 0, offen, offset:0,  nt // store D
v_fma_f64 v[vgprValuC+20:vgprValuC+20+1], v[16:17], s[sgprBeta+0:sgprBeta+0+1], v[vgprValuC+20:vgprValuC+20+1]
v_fma_f64 v[vgprValuC+20:vgprValuC+20+1], v[18:19], -s[sgprBeta+2:sgprBeta+2+1], v[vgprValuC+20:vgprValuC+20+1]
v_fma_f64 v[vgprValuC+22:vgprValuC+22+1], v[16:17], s[sgprBeta+2:sgprBeta+2+1], v[vgprValuC+22:vgprValuC+22+1]
v_fma_f64 v[vgprValuC+22:vgprValuC+22+1], v[18:19], s[sgprBeta+0:sgprBeta+0+1], v[vgprValuC+22:vgprValuC+22+1]
_buffer_store_b128 v[20:23], v7, s[sgprSrdD:sgprSrdD+3], 0, offen, offset:0,  nt // store D
s_nop 0                                            // 1 wait state required when next inst writes vgprs held by previous dwordx4 store inst
s_branch label_GW_End_44                           // jump to end
label_GW_End_44:

label_0049:  /// KernelEnd
s_endpgm                                           // Kernel End

